;; amdgpu-corpus repo=ROCm/rocSPARSE kind=compiled arch=gfx90a opt=O3
	.text
	.amdgcn_target "amdgcn-amd-amdhsa--gfx90a"
	.amdhsa_code_object_version 6
	.section	.text._ZN9rocsparseL39bsrgeam_wf_per_row_multipass_2_3_kernelILj256ELj2ELj32EfEEv20rocsparse_direction_iiiNS_24const_host_device_scalarIT2_EEPKiS6_PKS3_S4_S6_S6_S8_S6_PiPS3_21rocsparse_index_base_SB_SB_b,"axG",@progbits,_ZN9rocsparseL39bsrgeam_wf_per_row_multipass_2_3_kernelILj256ELj2ELj32EfEEv20rocsparse_direction_iiiNS_24const_host_device_scalarIT2_EEPKiS6_PKS3_S4_S6_S6_S8_S6_PiPS3_21rocsparse_index_base_SB_SB_b,comdat
	.globl	_ZN9rocsparseL39bsrgeam_wf_per_row_multipass_2_3_kernelILj256ELj2ELj32EfEEv20rocsparse_direction_iiiNS_24const_host_device_scalarIT2_EEPKiS6_PKS3_S4_S6_S6_S8_S6_PiPS3_21rocsparse_index_base_SB_SB_b ; -- Begin function _ZN9rocsparseL39bsrgeam_wf_per_row_multipass_2_3_kernelILj256ELj2ELj32EfEEv20rocsparse_direction_iiiNS_24const_host_device_scalarIT2_EEPKiS6_PKS3_S4_S6_S6_S8_S6_PiPS3_21rocsparse_index_base_SB_SB_b
	.p2align	8
	.type	_ZN9rocsparseL39bsrgeam_wf_per_row_multipass_2_3_kernelILj256ELj2ELj32EfEEv20rocsparse_direction_iiiNS_24const_host_device_scalarIT2_EEPKiS6_PKS3_S4_S6_S6_S8_S6_PiPS3_21rocsparse_index_base_SB_SB_b,@function
_ZN9rocsparseL39bsrgeam_wf_per_row_multipass_2_3_kernelILj256ELj2ELj32EfEEv20rocsparse_direction_iiiNS_24const_host_device_scalarIT2_EEPKiS6_PKS3_S4_S6_S6_S8_S6_PiPS3_21rocsparse_index_base_SB_SB_b: ; @_ZN9rocsparseL39bsrgeam_wf_per_row_multipass_2_3_kernelILj256ELj2ELj32EfEEv20rocsparse_direction_iiiNS_24const_host_device_scalarIT2_EEPKiS6_PKS3_S4_S6_S6_S8_S6_PiPS3_21rocsparse_index_base_SB_SB_b
; %bb.0:
	s_load_dwordx4 s[8:11], s[4:5], 0x68
	s_load_dwordx2 s[28:29], s[4:5], 0x10
	s_load_dwordx2 s[30:31], s[4:5], 0x30
	s_waitcnt lgkmcnt(0)
	s_bitcmp1_b32 s11, 0
	s_cselect_b64 s[2:3], -1, 0
	s_xor_b64 s[0:1], s[2:3], -1
	s_and_b64 vcc, exec, s[2:3]
	s_cbranch_vccnz .LBB0_2
; %bb.1:
	s_load_dword s28, s[28:29], 0x0
.LBB0_2:
	s_andn2_b64 vcc, exec, s[0:1]
	s_cbranch_vccnz .LBB0_4
; %bb.3:
	s_load_dword s30, s[30:31], 0x0
.LBB0_4:
	s_nop 0
	s_load_dwordx4 s[12:15], s[4:5], 0x0
	s_lshl_b32 s0, s6, 3
	v_lshrrev_b32_e32 v1, 5, v0
	s_and_b32 s0, s0, 0x7fffff8
	v_or_b32_e32 v2, s0, v1
	s_waitcnt lgkmcnt(0)
	v_cmp_gt_i32_e32 vcc, s13, v2
	s_and_saveexec_b64 s[0:1], vcc
	s_cbranch_execz .LBB0_39
; %bb.5:
	s_load_dwordx4 s[16:19], s[4:5], 0x18
	s_load_dwordx4 s[20:23], s[4:5], 0x38
	s_load_dwordx2 s[0:1], s[4:5], 0x50
	v_lshlrev_b32_e32 v6, 2, v2
	s_waitcnt lgkmcnt(0)
	global_load_dwordx2 v[2:3], v6, s[16:17]
	global_load_dwordx2 v[4:5], v6, s[20:21]
	global_load_dword v10, v6, s[0:1]
	s_waitcnt vmcnt(2)
	v_subrev_u32_e32 v6, s8, v2
	v_cmp_lt_i32_e32 vcc, v2, v3
	v_mov_b32_e32 v2, s14
	s_and_saveexec_b64 s[0:1], vcc
	s_cbranch_execz .LBB0_7
; %bb.6:
	v_ashrrev_i32_e32 v7, 31, v6
	v_lshlrev_b64 v[8:9], 2, v[6:7]
	v_mov_b32_e32 v2, s19
	v_add_co_u32_e32 v8, vcc, s18, v8
	v_addc_co_u32_e32 v9, vcc, v2, v9, vcc
	global_load_dword v2, v[8:9], off
	s_waitcnt vmcnt(0)
	v_subrev_u32_e32 v2, s8, v2
.LBB0_7:
	s_or_b64 exec, exec, s[0:1]
	s_load_dwordx4 s[24:27], s[4:5], 0x58
	s_load_dwordx2 s[6:7], s[4:5], 0x28
	s_load_dwordx2 s[16:17], s[4:5], 0x48
	s_waitcnt vmcnt(1)
	v_subrev_u32_e32 v8, s9, v4
	v_cmp_lt_i32_e32 vcc, v4, v5
	v_mov_b32_e32 v4, s14
	s_and_saveexec_b64 s[0:1], vcc
	s_cbranch_execz .LBB0_9
; %bb.8:
	v_ashrrev_i32_e32 v9, 31, v8
	v_lshlrev_b64 v[12:13], 2, v[8:9]
	v_mov_b32_e32 v4, s23
	v_add_co_u32_e32 v12, vcc, s22, v12
	v_addc_co_u32_e32 v13, vcc, v4, v13, vcc
	global_load_dword v4, v[12:13], off
	s_waitcnt vmcnt(0)
	v_subrev_u32_e32 v4, s9, v4
.LBB0_9:
	s_or_b64 exec, exec, s[0:1]
	v_lshlrev_b32_e32 v15, 9, v1
	v_mbcnt_lo_u32_b32 v1, -1, 0
	v_and_b32_e32 v7, 0xe0, v0
	v_and_b32_e32 v0, 31, v0
	v_mbcnt_hi_u32_b32 v1, -1, v1
	v_subrev_u32_e32 v16, s8, v3
	v_min_i32_e32 v29, v4, v2
	v_and_b32_e32 v2, 64, v1
	v_xor_b32_e32 v3, 31, v0
	v_add_u32_e32 v2, 64, v2
	v_lshrrev_b32_e64 v19, v3, -1
	v_xor_b32_e32 v3, 16, v1
	v_cmp_lt_i32_e32 vcc, v3, v2
	v_cndmask_b32_e32 v3, v1, v3, vcc
	v_lshlrev_b32_e32 v21, 2, v3
	v_xor_b32_e32 v3, 8, v1
	v_cmp_lt_i32_e32 vcc, v3, v2
	v_cndmask_b32_e32 v3, v1, v3, vcc
	v_lshlrev_b32_e32 v23, 2, v3
	;; [unrolled: 4-line block ×3, first 2 shown]
	v_xor_b32_e32 v3, 2, v1
	v_cmp_lt_i32_e32 vcc, v3, v2
	v_cndmask_b32_e32 v3, v1, v3, vcc
	s_cmp_lg_u32 s12, 0
	v_lshlrev_b32_e32 v25, 2, v3
	v_xor_b32_e32 v3, 1, v1
	s_cselect_b64 s[0:1], -1, 0
	v_cmp_lt_i32_e32 vcc, v3, v2
	v_or_b32_e32 v14, 0x1000, v7
	v_subrev_u32_e32 v17, s9, v5
	v_mov_b32_e32 v9, 0
	s_cmp_eq_u32 s12, 0
	v_cndmask_b32_e32 v1, v1, v3, vcc
	v_cndmask_b32_e64 v5, 0, 1, s[0:1]
	s_waitcnt vmcnt(0)
	v_subrev_u32_e32 v18, s10, v10
	v_add_u32_e32 v4, v6, v0
	v_add_u32_e32 v6, v8, v0
	;; [unrolled: 1-line block ×3, first 2 shown]
	v_lshl_or_b32 v22, v0, 4, v15
	v_lshlrev_b32_e32 v26, 2, v1
	s_cselect_b32 s15, 4, 8
	s_cselect_b32 s33, 8, 4
	s_mov_b32 s29, s28
	s_mov_b32 s31, s30
	s_mov_b64 s[4:5], 0
	v_add_u32_e32 v27, v14, v0
	v_mov_b32_e32 v0, v9
	v_mov_b32_e32 v1, v9
	;; [unrolled: 1-line block ×4, first 2 shown]
	v_cmp_ne_u32_e64 s[0:1], 1, v5
	v_mov_b32_e32 v28, 1
	s_branch .LBB0_11
.LBB0_10:                               ;   in Loop: Header=BB0_11 Depth=1
	s_or_b64 exec, exec, s[10:11]
	ds_bpermute_b32 v5, v21, v30
	s_bcnt1_i32_b64 s2, vcc
	v_add_u32_e32 v18, s2, v18
	s_waitcnt lgkmcnt(0)
	v_min_i32_e32 v5, v5, v30
	ds_bpermute_b32 v7, v23, v5
	s_waitcnt lgkmcnt(0)
	v_min_i32_e32 v5, v7, v5
	ds_bpermute_b32 v7, v24, v5
	;; [unrolled: 3-line block ×4, first 2 shown]
	s_waitcnt lgkmcnt(0)
	v_min_i32_e32 v29, v7, v5
	v_cmp_le_i32_e32 vcc, s14, v29
	s_or_b64 s[4:5], vcc, s[4:5]
	s_andn2_b64 exec, exec, s[4:5]
	s_cbranch_execz .LBB0_39
.LBB0_11:                               ; =>This Loop Header: Depth=1
                                        ;     Child Loop BB0_14 Depth 2
                                        ;     Child Loop BB0_27 Depth 2
	v_cmp_lt_i32_e32 vcc, v4, v16
	v_mov_b32_e32 v30, s14
	ds_write_b8 v27, v9
	ds_write_b128 v22, v[0:3]
	s_waitcnt lgkmcnt(0)
	s_and_saveexec_b64 s[10:11], vcc
	s_cbranch_execz .LBB0_24
; %bb.12:                               ;   in Loop: Header=BB0_11 Depth=1
	v_lshlrev_b32_e32 v8, 2, v4
	s_mov_b64 s[12:13], 0
	v_mov_b32_e32 v30, s14
	s_branch .LBB0_14
.LBB0_13:                               ;   in Loop: Header=BB0_14 Depth=2
	s_or_b64 exec, exec, s[34:35]
	s_and_b64 s[2:3], exec, s[20:21]
	s_or_b64 s[12:13], s[2:3], s[12:13]
	s_andn2_b64 exec, exec, s[12:13]
	s_cbranch_execz .LBB0_23
.LBB0_14:                               ;   Parent Loop BB0_11 Depth=1
                                        ; =>  This Inner Loop Header: Depth=2
	v_ashrrev_i32_e32 v5, 31, v4
	v_lshlrev_b64 v[10:11], 2, v[4:5]
	v_mov_b32_e32 v5, s19
	v_add_co_u32_e32 v10, vcc, s18, v10
	v_addc_co_u32_e32 v11, vcc, v5, v11, vcc
	global_load_dword v5, v[10:11], off
	s_waitcnt vmcnt(0)
	v_subrev_u32_e32 v7, s8, v5
	v_sub_u32_e32 v5, v7, v29
	v_cmp_gt_u32_e64 s[2:3], 32, v5
	v_cmp_lt_u32_e32 vcc, 31, v5
	s_and_saveexec_b64 s[20:21], vcc
	s_xor_b64 s[20:21], exec, s[20:21]
; %bb.15:                               ;   in Loop: Header=BB0_14 Depth=2
	v_min_i32_e32 v30, v7, v30
                                        ; implicit-def: $vgpr5
; %bb.16:                               ;   in Loop: Header=BB0_14 Depth=2
	s_andn2_saveexec_b64 s[20:21], s[20:21]
	s_cbranch_execz .LBB0_21
; %bb.17:                               ;   in Loop: Header=BB0_14 Depth=2
	v_lshlrev_b64 v[10:11], 2, v[8:9]
	v_mov_b32_e32 v7, s7
	v_add_co_u32_e32 v10, vcc, s6, v10
	v_addc_co_u32_e32 v11, vcc, v7, v11, vcc
	global_load_dword v7, v[10:11], off
	v_add_u32_e32 v12, v14, v5
	v_lshlrev_b32_e32 v5, 4, v5
	v_add_u32_e32 v5, v15, v5
	s_and_b64 vcc, exec, s[0:1]
	ds_write_b8 v12, v28
	s_waitcnt vmcnt(0)
	v_mul_f32_e32 v7, s28, v7
	ds_write_b32 v5, v7
	s_cbranch_vccnz .LBB0_19
; %bb.18:                               ;   in Loop: Header=BB0_14 Depth=2
	global_load_dwordx3 v[32:34], v[10:11], off offset:4
	s_waitcnt vmcnt(0)
	v_pk_mul_f32 v[12:13], s[28:29], v[32:33] op_sel:[0,1] op_sel_hi:[1,0]
	v_mul_f32_e32 v7, s28, v34
	ds_write2_b32 v5, v12, v13 offset0:1 offset1:2
	ds_write_b32 v5, v7 offset:12
	s_cbranch_execz .LBB0_20
	s_branch .LBB0_21
.LBB0_19:                               ;   in Loop: Header=BB0_14 Depth=2
.LBB0_20:                               ;   in Loop: Header=BB0_14 Depth=2
	global_load_dwordx3 v[10:12], v[10:11], off offset:4
	s_waitcnt vmcnt(0)
	v_pk_mul_f32 v[10:11], s[28:29], v[10:11]
	v_mul_f32_e32 v7, s28, v12
	ds_write2_b32 v5, v10, v11 offset0:1 offset1:2
	ds_write_b32 v5, v7 offset:12
.LBB0_21:                               ;   in Loop: Header=BB0_14 Depth=2
	s_or_b64 exec, exec, s[20:21]
	s_mov_b64 s[20:21], -1
	s_and_saveexec_b64 s[34:35], s[2:3]
	s_cbranch_execz .LBB0_13
; %bb.22:                               ;   in Loop: Header=BB0_14 Depth=2
	v_add_u32_e32 v4, 32, v4
	v_cmp_ge_i32_e32 vcc, v4, v16
	v_add_u32_e32 v8, 0x80, v8
	s_orn2_b64 s[20:21], vcc, exec
	s_branch .LBB0_13
.LBB0_23:                               ;   in Loop: Header=BB0_11 Depth=1
	s_or_b64 exec, exec, s[12:13]
.LBB0_24:                               ;   in Loop: Header=BB0_11 Depth=1
	s_or_b64 exec, exec, s[10:11]
	v_cmp_lt_i32_e32 vcc, v6, v17
	s_waitcnt lgkmcnt(0)
	s_and_saveexec_b64 s[10:11], vcc
	s_cbranch_execz .LBB0_37
; %bb.25:                               ;   in Loop: Header=BB0_11 Depth=1
	v_lshlrev_b32_e32 v8, 2, v6
	s_mov_b64 s[12:13], 0
	s_branch .LBB0_27
.LBB0_26:                               ;   in Loop: Header=BB0_27 Depth=2
	s_or_b64 exec, exec, s[34:35]
	s_and_b64 s[2:3], exec, s[20:21]
	s_or_b64 s[12:13], s[2:3], s[12:13]
	s_andn2_b64 exec, exec, s[12:13]
	s_cbranch_execz .LBB0_36
.LBB0_27:                               ;   Parent Loop BB0_11 Depth=1
                                        ; =>  This Inner Loop Header: Depth=2
	v_ashrrev_i32_e32 v7, 31, v6
	v_lshlrev_b64 v[10:11], 2, v[6:7]
	v_mov_b32_e32 v5, s23
	v_add_co_u32_e32 v10, vcc, s22, v10
	v_addc_co_u32_e32 v11, vcc, v5, v11, vcc
	global_load_dword v5, v[10:11], off
	s_waitcnt vmcnt(0)
	v_subrev_u32_e32 v5, s9, v5
	v_sub_u32_e32 v7, v5, v29
	v_cmp_gt_u32_e64 s[2:3], 32, v7
	v_cmp_lt_u32_e32 vcc, 31, v7
	s_and_saveexec_b64 s[20:21], vcc
	s_xor_b64 s[20:21], exec, s[20:21]
; %bb.28:                               ;   in Loop: Header=BB0_27 Depth=2
	v_min_i32_e32 v30, v5, v30
                                        ; implicit-def: $vgpr7
; %bb.29:                               ;   in Loop: Header=BB0_27 Depth=2
	s_andn2_saveexec_b64 s[20:21], s[20:21]
	s_cbranch_execz .LBB0_34
; %bb.30:                               ;   in Loop: Header=BB0_27 Depth=2
	v_lshlrev_b64 v[10:11], 2, v[8:9]
	v_mov_b32_e32 v5, s17
	v_add_co_u32_e32 v10, vcc, s16, v10
	v_addc_co_u32_e32 v11, vcc, v5, v11, vcc
	global_load_dword v31, v[10:11], off
	v_lshlrev_b32_e32 v5, 4, v7
	v_add_u32_e32 v5, v15, v5
	ds_read_b64 v[12:13], v5
	v_add_u32_e32 v7, v14, v7
	ds_write_b8 v7, v28
	s_and_b64 vcc, exec, s[0:1]
	s_waitcnt vmcnt(0) lgkmcnt(1)
	v_fma_f32 v7, s30, v31, v12
	ds_write_b32 v5, v7
	s_cbranch_vccnz .LBB0_32
; %bb.31:                               ;   in Loop: Header=BB0_27 Depth=2
	global_load_dwordx3 v[32:34], v[10:11], off offset:4
	ds_read_b64 v[36:37], v5 offset:8
	v_mov_b32_e32 v38, v13
	s_waitcnt lgkmcnt(0)
	v_mov_b32_e32 v39, v36
	s_waitcnt vmcnt(0)
	v_pk_fma_f32 v[32:33], s[30:31], v[32:33], v[38:39] op_sel:[0,1,0] op_sel_hi:[1,0,1]
	v_fmac_f32_e32 v37, s30, v34
	ds_write2_b32 v5, v32, v33 offset0:1 offset1:2
	ds_write_b32 v5, v37 offset:12
	s_cbranch_execz .LBB0_33
	s_branch .LBB0_34
.LBB0_32:                               ;   in Loop: Header=BB0_27 Depth=2
.LBB0_33:                               ;   in Loop: Header=BB0_27 Depth=2
	global_load_dwordx3 v[10:12], v[10:11], off offset:4
	ds_read_b64 v[32:33], v5 offset:8
	v_mov_b32_e32 v34, v13
	s_waitcnt lgkmcnt(0)
	v_mov_b32_e32 v35, v32
	s_waitcnt vmcnt(0)
	v_pk_fma_f32 v[10:11], s[30:31], v[10:11], v[34:35]
	v_fmac_f32_e32 v33, s30, v12
	ds_write2_b32 v5, v10, v11 offset0:1 offset1:2
	ds_write_b32 v5, v33 offset:12
.LBB0_34:                               ;   in Loop: Header=BB0_27 Depth=2
	s_or_b64 exec, exec, s[20:21]
	s_mov_b64 s[20:21], -1
	s_and_saveexec_b64 s[34:35], s[2:3]
	s_cbranch_execz .LBB0_26
; %bb.35:                               ;   in Loop: Header=BB0_27 Depth=2
	v_add_u32_e32 v6, 32, v6
	v_cmp_ge_i32_e32 vcc, v6, v17
	v_add_u32_e32 v8, 0x80, v8
	s_orn2_b64 s[20:21], vcc, exec
	s_branch .LBB0_26
.LBB0_36:                               ;   in Loop: Header=BB0_11 Depth=1
	s_or_b64 exec, exec, s[12:13]
.LBB0_37:                               ;   in Loop: Header=BB0_11 Depth=1
	s_or_b64 exec, exec, s[10:11]
	s_waitcnt lgkmcnt(0)
	ds_read_u8 v5, v27
	s_waitcnt lgkmcnt(0)
	v_and_b32_e32 v7, 1, v5
	v_cmp_eq_u32_e64 s[2:3], 1, v7
	v_cmp_ne_u16_e32 vcc, 0, v5
	s_and_saveexec_b64 s[10:11], s[2:3]
	s_cbranch_execz .LBB0_10
; %bb.38:                               ;   in Loop: Header=BB0_11 Depth=1
	v_and_b32_e32 v5, vcc_lo, v19
	v_bcnt_u32_b32 v5, v5, 0
	v_add3_u32 v10, v18, v5, -1
	v_ashrrev_i32_e32 v11, 31, v10
	v_lshlrev_b64 v[12:13], 2, v[10:11]
	v_mov_b32_e32 v5, s25
	v_add_co_u32_e64 v12, s[2:3], s24, v12
	v_add_u32_e32 v7, v20, v29
	v_addc_co_u32_e64 v13, s[2:3], v5, v13, s[2:3]
	global_store_dword v[12:13], v7, off
	v_lshlrev_b32_e32 v8, 2, v10
	v_add_u32_e32 v7, s15, v22
	v_lshlrev_b64 v[32:33], 2, v[8:9]
	v_add_u32_e32 v8, s33, v22
	ds_read_b32 v11, v7
	ds_read_b32 v12, v8
	ds_read2_b32 v[34:35], v22 offset1:3
	v_mov_b32_e32 v5, s27
	v_add_co_u32_e64 v32, s[2:3], s26, v32
	v_addc_co_u32_e64 v33, s[2:3], v5, v33, s[2:3]
	s_waitcnt lgkmcnt(0)
	v_mov_b32_e32 v10, v34
	v_mov_b32_e32 v13, v35
	global_store_dwordx4 v[32:33], v[10:13], off
	s_branch .LBB0_10
.LBB0_39:
	s_endpgm
	.section	.rodata,"a",@progbits
	.p2align	6, 0x0
	.amdhsa_kernel _ZN9rocsparseL39bsrgeam_wf_per_row_multipass_2_3_kernelILj256ELj2ELj32EfEEv20rocsparse_direction_iiiNS_24const_host_device_scalarIT2_EEPKiS6_PKS3_S4_S6_S6_S8_S6_PiPS3_21rocsparse_index_base_SB_SB_b
		.amdhsa_group_segment_fixed_size 4352
		.amdhsa_private_segment_fixed_size 0
		.amdhsa_kernarg_size 120
		.amdhsa_user_sgpr_count 6
		.amdhsa_user_sgpr_private_segment_buffer 1
		.amdhsa_user_sgpr_dispatch_ptr 0
		.amdhsa_user_sgpr_queue_ptr 0
		.amdhsa_user_sgpr_kernarg_segment_ptr 1
		.amdhsa_user_sgpr_dispatch_id 0
		.amdhsa_user_sgpr_flat_scratch_init 0
		.amdhsa_user_sgpr_kernarg_preload_length 0
		.amdhsa_user_sgpr_kernarg_preload_offset 0
		.amdhsa_user_sgpr_private_segment_size 0
		.amdhsa_uses_dynamic_stack 0
		.amdhsa_system_sgpr_private_segment_wavefront_offset 0
		.amdhsa_system_sgpr_workgroup_id_x 1
		.amdhsa_system_sgpr_workgroup_id_y 0
		.amdhsa_system_sgpr_workgroup_id_z 0
		.amdhsa_system_sgpr_workgroup_info 0
		.amdhsa_system_vgpr_workitem_id 0
		.amdhsa_next_free_vgpr 40
		.amdhsa_next_free_sgpr 36
		.amdhsa_accum_offset 40
		.amdhsa_reserve_vcc 1
		.amdhsa_reserve_flat_scratch 0
		.amdhsa_float_round_mode_32 0
		.amdhsa_float_round_mode_16_64 0
		.amdhsa_float_denorm_mode_32 3
		.amdhsa_float_denorm_mode_16_64 3
		.amdhsa_dx10_clamp 1
		.amdhsa_ieee_mode 1
		.amdhsa_fp16_overflow 0
		.amdhsa_tg_split 0
		.amdhsa_exception_fp_ieee_invalid_op 0
		.amdhsa_exception_fp_denorm_src 0
		.amdhsa_exception_fp_ieee_div_zero 0
		.amdhsa_exception_fp_ieee_overflow 0
		.amdhsa_exception_fp_ieee_underflow 0
		.amdhsa_exception_fp_ieee_inexact 0
		.amdhsa_exception_int_div_zero 0
	.end_amdhsa_kernel
	.section	.text._ZN9rocsparseL39bsrgeam_wf_per_row_multipass_2_3_kernelILj256ELj2ELj32EfEEv20rocsparse_direction_iiiNS_24const_host_device_scalarIT2_EEPKiS6_PKS3_S4_S6_S6_S8_S6_PiPS3_21rocsparse_index_base_SB_SB_b,"axG",@progbits,_ZN9rocsparseL39bsrgeam_wf_per_row_multipass_2_3_kernelILj256ELj2ELj32EfEEv20rocsparse_direction_iiiNS_24const_host_device_scalarIT2_EEPKiS6_PKS3_S4_S6_S6_S8_S6_PiPS3_21rocsparse_index_base_SB_SB_b,comdat
.Lfunc_end0:
	.size	_ZN9rocsparseL39bsrgeam_wf_per_row_multipass_2_3_kernelILj256ELj2ELj32EfEEv20rocsparse_direction_iiiNS_24const_host_device_scalarIT2_EEPKiS6_PKS3_S4_S6_S6_S8_S6_PiPS3_21rocsparse_index_base_SB_SB_b, .Lfunc_end0-_ZN9rocsparseL39bsrgeam_wf_per_row_multipass_2_3_kernelILj256ELj2ELj32EfEEv20rocsparse_direction_iiiNS_24const_host_device_scalarIT2_EEPKiS6_PKS3_S4_S6_S6_S8_S6_PiPS3_21rocsparse_index_base_SB_SB_b
                                        ; -- End function
	.section	.AMDGPU.csdata,"",@progbits
; Kernel info:
; codeLenInByte = 1640
; NumSgprs: 40
; NumVgprs: 40
; NumAgprs: 0
; TotalNumVgprs: 40
; ScratchSize: 0
; MemoryBound: 0
; FloatMode: 240
; IeeeMode: 1
; LDSByteSize: 4352 bytes/workgroup (compile time only)
; SGPRBlocks: 4
; VGPRBlocks: 4
; NumSGPRsForWavesPerEU: 40
; NumVGPRsForWavesPerEU: 40
; AccumOffset: 40
; Occupancy: 8
; WaveLimiterHint : 1
; COMPUTE_PGM_RSRC2:SCRATCH_EN: 0
; COMPUTE_PGM_RSRC2:USER_SGPR: 6
; COMPUTE_PGM_RSRC2:TRAP_HANDLER: 0
; COMPUTE_PGM_RSRC2:TGID_X_EN: 1
; COMPUTE_PGM_RSRC2:TGID_Y_EN: 0
; COMPUTE_PGM_RSRC2:TGID_Z_EN: 0
; COMPUTE_PGM_RSRC2:TIDIG_COMP_CNT: 0
; COMPUTE_PGM_RSRC3_GFX90A:ACCUM_OFFSET: 9
; COMPUTE_PGM_RSRC3_GFX90A:TG_SPLIT: 0
	.section	.text._ZN9rocsparseL39bsrgeam_wf_per_row_multipass_2_3_kernelILj256ELj2ELj64EfEEv20rocsparse_direction_iiiNS_24const_host_device_scalarIT2_EEPKiS6_PKS3_S4_S6_S6_S8_S6_PiPS3_21rocsparse_index_base_SB_SB_b,"axG",@progbits,_ZN9rocsparseL39bsrgeam_wf_per_row_multipass_2_3_kernelILj256ELj2ELj64EfEEv20rocsparse_direction_iiiNS_24const_host_device_scalarIT2_EEPKiS6_PKS3_S4_S6_S6_S8_S6_PiPS3_21rocsparse_index_base_SB_SB_b,comdat
	.globl	_ZN9rocsparseL39bsrgeam_wf_per_row_multipass_2_3_kernelILj256ELj2ELj64EfEEv20rocsparse_direction_iiiNS_24const_host_device_scalarIT2_EEPKiS6_PKS3_S4_S6_S6_S8_S6_PiPS3_21rocsparse_index_base_SB_SB_b ; -- Begin function _ZN9rocsparseL39bsrgeam_wf_per_row_multipass_2_3_kernelILj256ELj2ELj64EfEEv20rocsparse_direction_iiiNS_24const_host_device_scalarIT2_EEPKiS6_PKS3_S4_S6_S6_S8_S6_PiPS3_21rocsparse_index_base_SB_SB_b
	.p2align	8
	.type	_ZN9rocsparseL39bsrgeam_wf_per_row_multipass_2_3_kernelILj256ELj2ELj64EfEEv20rocsparse_direction_iiiNS_24const_host_device_scalarIT2_EEPKiS6_PKS3_S4_S6_S6_S8_S6_PiPS3_21rocsparse_index_base_SB_SB_b,@function
_ZN9rocsparseL39bsrgeam_wf_per_row_multipass_2_3_kernelILj256ELj2ELj64EfEEv20rocsparse_direction_iiiNS_24const_host_device_scalarIT2_EEPKiS6_PKS3_S4_S6_S6_S8_S6_PiPS3_21rocsparse_index_base_SB_SB_b: ; @_ZN9rocsparseL39bsrgeam_wf_per_row_multipass_2_3_kernelILj256ELj2ELj64EfEEv20rocsparse_direction_iiiNS_24const_host_device_scalarIT2_EEPKiS6_PKS3_S4_S6_S6_S8_S6_PiPS3_21rocsparse_index_base_SB_SB_b
; %bb.0:
	s_load_dwordx4 s[8:11], s[4:5], 0x68
	s_load_dwordx2 s[28:29], s[4:5], 0x10
	s_load_dwordx2 s[30:31], s[4:5], 0x30
	s_waitcnt lgkmcnt(0)
	s_bitcmp1_b32 s11, 0
	s_cselect_b64 s[2:3], -1, 0
	s_xor_b64 s[0:1], s[2:3], -1
	s_and_b64 vcc, exec, s[2:3]
	s_cbranch_vccnz .LBB1_2
; %bb.1:
	s_load_dword s28, s[28:29], 0x0
.LBB1_2:
	s_andn2_b64 vcc, exec, s[0:1]
	s_cbranch_vccnz .LBB1_4
; %bb.3:
	s_load_dword s30, s[30:31], 0x0
.LBB1_4:
	s_nop 0
	s_load_dwordx4 s[12:15], s[4:5], 0x0
	s_lshl_b32 s0, s6, 2
	v_lshrrev_b32_e32 v1, 6, v0
	s_and_b32 s0, s0, 0x3fffffc
	v_or_b32_e32 v2, s0, v1
	s_waitcnt lgkmcnt(0)
	v_cmp_gt_i32_e32 vcc, s13, v2
	s_and_saveexec_b64 s[0:1], vcc
	s_cbranch_execz .LBB1_39
; %bb.5:
	s_load_dwordx4 s[16:19], s[4:5], 0x18
	s_load_dwordx4 s[20:23], s[4:5], 0x38
	s_load_dwordx2 s[0:1], s[4:5], 0x50
	v_lshlrev_b32_e32 v6, 2, v2
	s_waitcnt lgkmcnt(0)
	global_load_dwordx2 v[2:3], v6, s[16:17]
	global_load_dwordx2 v[4:5], v6, s[20:21]
	global_load_dword v10, v6, s[0:1]
	s_waitcnt vmcnt(2)
	v_subrev_u32_e32 v6, s8, v2
	v_cmp_lt_i32_e32 vcc, v2, v3
	v_mov_b32_e32 v2, s14
	s_and_saveexec_b64 s[0:1], vcc
	s_cbranch_execz .LBB1_7
; %bb.6:
	v_ashrrev_i32_e32 v7, 31, v6
	v_lshlrev_b64 v[8:9], 2, v[6:7]
	v_mov_b32_e32 v2, s19
	v_add_co_u32_e32 v8, vcc, s18, v8
	v_addc_co_u32_e32 v9, vcc, v2, v9, vcc
	global_load_dword v2, v[8:9], off
	s_waitcnt vmcnt(0)
	v_subrev_u32_e32 v2, s8, v2
.LBB1_7:
	s_or_b64 exec, exec, s[0:1]
	s_load_dwordx4 s[24:27], s[4:5], 0x58
	s_load_dwordx2 s[6:7], s[4:5], 0x28
	s_load_dwordx2 s[16:17], s[4:5], 0x48
	s_waitcnt vmcnt(1)
	v_subrev_u32_e32 v8, s9, v4
	v_cmp_lt_i32_e32 vcc, v4, v5
	v_mov_b32_e32 v4, s14
	s_and_saveexec_b64 s[0:1], vcc
	s_cbranch_execz .LBB1_9
; %bb.8:
	v_ashrrev_i32_e32 v9, 31, v8
	v_lshlrev_b64 v[12:13], 2, v[8:9]
	v_mov_b32_e32 v4, s23
	v_add_co_u32_e32 v12, vcc, s22, v12
	v_addc_co_u32_e32 v13, vcc, v4, v13, vcc
	global_load_dword v4, v[12:13], off
	s_waitcnt vmcnt(0)
	v_subrev_u32_e32 v4, s9, v4
.LBB1_9:
	s_or_b64 exec, exec, s[0:1]
	v_lshlrev_b32_e32 v17, 10, v1
	v_mbcnt_lo_u32_b32 v1, -1, 0
	v_and_b32_e32 v7, 0xc0, v0
	v_and_b32_e32 v0, 63, v0
	v_mbcnt_hi_u32_b32 v1, -1, v1
	v_subrev_u32_e32 v18, s8, v3
	v_min_i32_e32 v30, v4, v2
	v_and_b32_e32 v2, 64, v1
	v_xor_b32_e32 v3, 63, v0
	s_waitcnt vmcnt(0)
	v_subrev_u32_e32 v20, s10, v10
	v_add_u32_e32 v2, 64, v2
	v_lshrrev_b64 v[10:11], v3, -1
	v_xor_b32_e32 v3, 32, v1
	v_cmp_lt_i32_e32 vcc, v3, v2
	v_cndmask_b32_e32 v3, v1, v3, vcc
	v_lshlrev_b32_e32 v22, 2, v3
	v_xor_b32_e32 v3, 16, v1
	v_cmp_lt_i32_e32 vcc, v3, v2
	v_cndmask_b32_e32 v3, v1, v3, vcc
	v_lshlrev_b32_e32 v24, 2, v3
	;; [unrolled: 4-line block ×4, first 2 shown]
	v_xor_b32_e32 v3, 2, v1
	v_cmp_lt_i32_e32 vcc, v3, v2
	v_cndmask_b32_e32 v3, v1, v3, vcc
	s_cmp_lg_u32 s12, 0
	v_lshlrev_b32_e32 v27, 2, v3
	v_xor_b32_e32 v3, 1, v1
	s_cselect_b64 s[0:1], -1, 0
	v_cmp_lt_i32_e32 vcc, v3, v2
	v_or_b32_e32 v16, 0x1000, v7
	v_subrev_u32_e32 v19, s9, v5
	v_mov_b32_e32 v9, 0
	s_cmp_eq_u32 s12, 0
	v_cndmask_b32_e32 v1, v1, v3, vcc
	v_cndmask_b32_e64 v5, 0, 1, s[0:1]
	v_add_u32_e32 v4, v6, v0
	v_add_u32_e32 v6, v8, v0
	;; [unrolled: 1-line block ×3, first 2 shown]
	v_lshl_or_b32 v23, v0, 4, v17
	v_lshlrev_b32_e32 v28, 2, v1
	s_cselect_b32 s15, 4, 8
	s_cselect_b32 s33, 8, 4
	s_mov_b32 s29, s28
	s_mov_b32 s31, s30
	s_mov_b64 s[4:5], 0
	v_add_u32_e32 v29, v16, v0
	v_mov_b32_e32 v0, v9
	v_mov_b32_e32 v1, v9
	;; [unrolled: 1-line block ×4, first 2 shown]
	v_cmp_ne_u32_e64 s[0:1], 1, v5
	v_mov_b32_e32 v31, 1
	s_branch .LBB1_11
.LBB1_10:                               ;   in Loop: Header=BB1_11 Depth=1
	s_or_b64 exec, exec, s[10:11]
	ds_bpermute_b32 v5, v22, v32
	s_bcnt1_i32_b64 s2, vcc
	v_add_u32_e32 v20, s2, v20
	s_waitcnt lgkmcnt(0)
	v_min_i32_e32 v5, v5, v32
	ds_bpermute_b32 v7, v24, v5
	s_waitcnt lgkmcnt(0)
	v_min_i32_e32 v5, v7, v5
	ds_bpermute_b32 v7, v25, v5
	;; [unrolled: 3-line block ×5, first 2 shown]
	s_waitcnt lgkmcnt(0)
	v_min_i32_e32 v30, v7, v5
	v_cmp_le_i32_e32 vcc, s14, v30
	s_or_b64 s[4:5], vcc, s[4:5]
	s_andn2_b64 exec, exec, s[4:5]
	s_cbranch_execz .LBB1_39
.LBB1_11:                               ; =>This Loop Header: Depth=1
                                        ;     Child Loop BB1_14 Depth 2
                                        ;     Child Loop BB1_27 Depth 2
	v_cmp_lt_i32_e32 vcc, v4, v18
	v_mov_b32_e32 v32, s14
	ds_write_b8 v29, v9
	ds_write_b128 v23, v[0:3]
	s_waitcnt lgkmcnt(0)
	s_and_saveexec_b64 s[10:11], vcc
	s_cbranch_execz .LBB1_24
; %bb.12:                               ;   in Loop: Header=BB1_11 Depth=1
	v_lshlrev_b32_e32 v8, 2, v4
	s_mov_b64 s[12:13], 0
	v_mov_b32_e32 v32, s14
	s_branch .LBB1_14
.LBB1_13:                               ;   in Loop: Header=BB1_14 Depth=2
	s_or_b64 exec, exec, s[34:35]
	s_and_b64 s[2:3], exec, s[20:21]
	s_or_b64 s[12:13], s[2:3], s[12:13]
	s_andn2_b64 exec, exec, s[12:13]
	s_cbranch_execz .LBB1_23
.LBB1_14:                               ;   Parent Loop BB1_11 Depth=1
                                        ; =>  This Inner Loop Header: Depth=2
	v_ashrrev_i32_e32 v5, 31, v4
	v_lshlrev_b64 v[12:13], 2, v[4:5]
	v_mov_b32_e32 v5, s19
	v_add_co_u32_e32 v12, vcc, s18, v12
	v_addc_co_u32_e32 v13, vcc, v5, v13, vcc
	global_load_dword v5, v[12:13], off
	s_waitcnt vmcnt(0)
	v_subrev_u32_e32 v7, s8, v5
	v_sub_u32_e32 v5, v7, v30
	v_cmp_gt_u32_e64 s[2:3], 64, v5
	v_cmp_lt_u32_e32 vcc, 63, v5
	s_and_saveexec_b64 s[20:21], vcc
	s_xor_b64 s[20:21], exec, s[20:21]
; %bb.15:                               ;   in Loop: Header=BB1_14 Depth=2
	v_min_i32_e32 v32, v7, v32
                                        ; implicit-def: $vgpr5
; %bb.16:                               ;   in Loop: Header=BB1_14 Depth=2
	s_andn2_saveexec_b64 s[20:21], s[20:21]
	s_cbranch_execz .LBB1_21
; %bb.17:                               ;   in Loop: Header=BB1_14 Depth=2
	v_lshlrev_b64 v[12:13], 2, v[8:9]
	v_mov_b32_e32 v7, s7
	v_add_co_u32_e32 v12, vcc, s6, v12
	v_addc_co_u32_e32 v13, vcc, v7, v13, vcc
	global_load_dword v7, v[12:13], off
	v_add_u32_e32 v14, v16, v5
	v_lshlrev_b32_e32 v5, 4, v5
	v_add_u32_e32 v5, v17, v5
	s_and_b64 vcc, exec, s[0:1]
	ds_write_b8 v14, v31
	s_waitcnt vmcnt(0)
	v_mul_f32_e32 v7, s28, v7
	ds_write_b32 v5, v7
	s_cbranch_vccnz .LBB1_19
; %bb.18:                               ;   in Loop: Header=BB1_14 Depth=2
	global_load_dwordx3 v[34:36], v[12:13], off offset:4
	s_waitcnt vmcnt(0)
	v_pk_mul_f32 v[14:15], s[28:29], v[34:35] op_sel:[0,1] op_sel_hi:[1,0]
	v_mul_f32_e32 v7, s28, v36
	ds_write2_b32 v5, v14, v15 offset0:1 offset1:2
	ds_write_b32 v5, v7 offset:12
	s_cbranch_execz .LBB1_20
	s_branch .LBB1_21
.LBB1_19:                               ;   in Loop: Header=BB1_14 Depth=2
.LBB1_20:                               ;   in Loop: Header=BB1_14 Depth=2
	global_load_dwordx3 v[12:14], v[12:13], off offset:4
	s_waitcnt vmcnt(0)
	v_pk_mul_f32 v[12:13], s[28:29], v[12:13]
	v_mul_f32_e32 v7, s28, v14
	ds_write2_b32 v5, v12, v13 offset0:1 offset1:2
	ds_write_b32 v5, v7 offset:12
.LBB1_21:                               ;   in Loop: Header=BB1_14 Depth=2
	s_or_b64 exec, exec, s[20:21]
	s_mov_b64 s[20:21], -1
	s_and_saveexec_b64 s[34:35], s[2:3]
	s_cbranch_execz .LBB1_13
; %bb.22:                               ;   in Loop: Header=BB1_14 Depth=2
	v_add_u32_e32 v4, 64, v4
	v_cmp_ge_i32_e32 vcc, v4, v18
	v_add_u32_e32 v8, 0x100, v8
	s_orn2_b64 s[20:21], vcc, exec
	s_branch .LBB1_13
.LBB1_23:                               ;   in Loop: Header=BB1_11 Depth=1
	s_or_b64 exec, exec, s[12:13]
.LBB1_24:                               ;   in Loop: Header=BB1_11 Depth=1
	s_or_b64 exec, exec, s[10:11]
	v_cmp_lt_i32_e32 vcc, v6, v19
	s_waitcnt lgkmcnt(0)
	s_and_saveexec_b64 s[10:11], vcc
	s_cbranch_execz .LBB1_37
; %bb.25:                               ;   in Loop: Header=BB1_11 Depth=1
	v_lshlrev_b32_e32 v8, 2, v6
	s_mov_b64 s[12:13], 0
	s_branch .LBB1_27
.LBB1_26:                               ;   in Loop: Header=BB1_27 Depth=2
	s_or_b64 exec, exec, s[34:35]
	s_and_b64 s[2:3], exec, s[20:21]
	s_or_b64 s[12:13], s[2:3], s[12:13]
	s_andn2_b64 exec, exec, s[12:13]
	s_cbranch_execz .LBB1_36
.LBB1_27:                               ;   Parent Loop BB1_11 Depth=1
                                        ; =>  This Inner Loop Header: Depth=2
	v_ashrrev_i32_e32 v7, 31, v6
	v_lshlrev_b64 v[12:13], 2, v[6:7]
	v_mov_b32_e32 v5, s23
	v_add_co_u32_e32 v12, vcc, s22, v12
	v_addc_co_u32_e32 v13, vcc, v5, v13, vcc
	global_load_dword v5, v[12:13], off
	s_waitcnt vmcnt(0)
	v_subrev_u32_e32 v5, s9, v5
	v_sub_u32_e32 v7, v5, v30
	v_cmp_gt_u32_e64 s[2:3], 64, v7
	v_cmp_lt_u32_e32 vcc, 63, v7
	s_and_saveexec_b64 s[20:21], vcc
	s_xor_b64 s[20:21], exec, s[20:21]
; %bb.28:                               ;   in Loop: Header=BB1_27 Depth=2
	v_min_i32_e32 v32, v5, v32
                                        ; implicit-def: $vgpr7
; %bb.29:                               ;   in Loop: Header=BB1_27 Depth=2
	s_andn2_saveexec_b64 s[20:21], s[20:21]
	s_cbranch_execz .LBB1_34
; %bb.30:                               ;   in Loop: Header=BB1_27 Depth=2
	v_lshlrev_b64 v[12:13], 2, v[8:9]
	v_mov_b32_e32 v5, s17
	v_add_co_u32_e32 v12, vcc, s16, v12
	v_addc_co_u32_e32 v13, vcc, v5, v13, vcc
	global_load_dword v33, v[12:13], off
	v_lshlrev_b32_e32 v5, 4, v7
	v_add_u32_e32 v5, v17, v5
	ds_read_b64 v[14:15], v5
	v_add_u32_e32 v7, v16, v7
	ds_write_b8 v7, v31
	s_and_b64 vcc, exec, s[0:1]
	s_waitcnt vmcnt(0) lgkmcnt(1)
	v_fma_f32 v7, s30, v33, v14
	ds_write_b32 v5, v7
	s_cbranch_vccnz .LBB1_32
; %bb.31:                               ;   in Loop: Header=BB1_27 Depth=2
	global_load_dwordx3 v[34:36], v[12:13], off offset:4
	ds_read_b64 v[38:39], v5 offset:8
	v_mov_b32_e32 v40, v15
	s_waitcnt lgkmcnt(0)
	v_mov_b32_e32 v41, v38
	s_waitcnt vmcnt(0)
	v_pk_fma_f32 v[34:35], s[30:31], v[34:35], v[40:41] op_sel:[0,1,0] op_sel_hi:[1,0,1]
	v_fmac_f32_e32 v39, s30, v36
	ds_write2_b32 v5, v34, v35 offset0:1 offset1:2
	ds_write_b32 v5, v39 offset:12
	s_cbranch_execz .LBB1_33
	s_branch .LBB1_34
.LBB1_32:                               ;   in Loop: Header=BB1_27 Depth=2
.LBB1_33:                               ;   in Loop: Header=BB1_27 Depth=2
	global_load_dwordx3 v[12:14], v[12:13], off offset:4
	ds_read_b64 v[34:35], v5 offset:8
	v_mov_b32_e32 v36, v15
	s_waitcnt lgkmcnt(0)
	v_mov_b32_e32 v37, v34
	s_waitcnt vmcnt(0)
	v_pk_fma_f32 v[12:13], s[30:31], v[12:13], v[36:37]
	v_fmac_f32_e32 v35, s30, v14
	ds_write2_b32 v5, v12, v13 offset0:1 offset1:2
	ds_write_b32 v5, v35 offset:12
.LBB1_34:                               ;   in Loop: Header=BB1_27 Depth=2
	s_or_b64 exec, exec, s[20:21]
	s_mov_b64 s[20:21], -1
	s_and_saveexec_b64 s[34:35], s[2:3]
	s_cbranch_execz .LBB1_26
; %bb.35:                               ;   in Loop: Header=BB1_27 Depth=2
	v_add_u32_e32 v6, 64, v6
	v_cmp_ge_i32_e32 vcc, v6, v19
	v_add_u32_e32 v8, 0x100, v8
	s_orn2_b64 s[20:21], vcc, exec
	s_branch .LBB1_26
.LBB1_36:                               ;   in Loop: Header=BB1_11 Depth=1
	s_or_b64 exec, exec, s[12:13]
.LBB1_37:                               ;   in Loop: Header=BB1_11 Depth=1
	s_or_b64 exec, exec, s[10:11]
	s_waitcnt lgkmcnt(0)
	ds_read_u8 v5, v29
	s_waitcnt lgkmcnt(0)
	v_and_b32_e32 v7, 1, v5
	v_cmp_eq_u32_e64 s[2:3], 1, v7
	v_cmp_ne_u16_e32 vcc, 0, v5
	s_and_saveexec_b64 s[10:11], s[2:3]
	s_cbranch_execz .LBB1_10
; %bb.38:                               ;   in Loop: Header=BB1_11 Depth=1
	v_and_b32_e32 v7, vcc_lo, v10
	v_and_b32_e32 v5, vcc_hi, v11
	v_bcnt_u32_b32 v7, v7, 0
	v_bcnt_u32_b32 v5, v5, v7
	v_add3_u32 v12, v20, v5, -1
	v_ashrrev_i32_e32 v13, 31, v12
	v_lshlrev_b64 v[14:15], 2, v[12:13]
	v_mov_b32_e32 v5, s25
	v_add_co_u32_e64 v14, s[2:3], s24, v14
	v_add_u32_e32 v7, v21, v30
	v_addc_co_u32_e64 v15, s[2:3], v5, v15, s[2:3]
	global_store_dword v[14:15], v7, off
	v_lshlrev_b32_e32 v8, 2, v12
	v_add_u32_e32 v7, s15, v23
	v_lshlrev_b64 v[34:35], 2, v[8:9]
	v_add_u32_e32 v8, s33, v23
	ds_read_b32 v13, v7
	ds_read_b32 v14, v8
	ds_read2_b32 v[36:37], v23 offset1:3
	v_mov_b32_e32 v5, s27
	v_add_co_u32_e64 v34, s[2:3], s26, v34
	v_addc_co_u32_e64 v35, s[2:3], v5, v35, s[2:3]
	s_waitcnt lgkmcnt(0)
	v_mov_b32_e32 v12, v36
	v_mov_b32_e32 v15, v37
	global_store_dwordx4 v[34:35], v[12:15], off
	s_branch .LBB1_10
.LBB1_39:
	s_endpgm
	.section	.rodata,"a",@progbits
	.p2align	6, 0x0
	.amdhsa_kernel _ZN9rocsparseL39bsrgeam_wf_per_row_multipass_2_3_kernelILj256ELj2ELj64EfEEv20rocsparse_direction_iiiNS_24const_host_device_scalarIT2_EEPKiS6_PKS3_S4_S6_S6_S8_S6_PiPS3_21rocsparse_index_base_SB_SB_b
		.amdhsa_group_segment_fixed_size 4352
		.amdhsa_private_segment_fixed_size 0
		.amdhsa_kernarg_size 120
		.amdhsa_user_sgpr_count 6
		.amdhsa_user_sgpr_private_segment_buffer 1
		.amdhsa_user_sgpr_dispatch_ptr 0
		.amdhsa_user_sgpr_queue_ptr 0
		.amdhsa_user_sgpr_kernarg_segment_ptr 1
		.amdhsa_user_sgpr_dispatch_id 0
		.amdhsa_user_sgpr_flat_scratch_init 0
		.amdhsa_user_sgpr_kernarg_preload_length 0
		.amdhsa_user_sgpr_kernarg_preload_offset 0
		.amdhsa_user_sgpr_private_segment_size 0
		.amdhsa_uses_dynamic_stack 0
		.amdhsa_system_sgpr_private_segment_wavefront_offset 0
		.amdhsa_system_sgpr_workgroup_id_x 1
		.amdhsa_system_sgpr_workgroup_id_y 0
		.amdhsa_system_sgpr_workgroup_id_z 0
		.amdhsa_system_sgpr_workgroup_info 0
		.amdhsa_system_vgpr_workitem_id 0
		.amdhsa_next_free_vgpr 42
		.amdhsa_next_free_sgpr 36
		.amdhsa_accum_offset 44
		.amdhsa_reserve_vcc 1
		.amdhsa_reserve_flat_scratch 0
		.amdhsa_float_round_mode_32 0
		.amdhsa_float_round_mode_16_64 0
		.amdhsa_float_denorm_mode_32 3
		.amdhsa_float_denorm_mode_16_64 3
		.amdhsa_dx10_clamp 1
		.amdhsa_ieee_mode 1
		.amdhsa_fp16_overflow 0
		.amdhsa_tg_split 0
		.amdhsa_exception_fp_ieee_invalid_op 0
		.amdhsa_exception_fp_denorm_src 0
		.amdhsa_exception_fp_ieee_div_zero 0
		.amdhsa_exception_fp_ieee_overflow 0
		.amdhsa_exception_fp_ieee_underflow 0
		.amdhsa_exception_fp_ieee_inexact 0
		.amdhsa_exception_int_div_zero 0
	.end_amdhsa_kernel
	.section	.text._ZN9rocsparseL39bsrgeam_wf_per_row_multipass_2_3_kernelILj256ELj2ELj64EfEEv20rocsparse_direction_iiiNS_24const_host_device_scalarIT2_EEPKiS6_PKS3_S4_S6_S6_S8_S6_PiPS3_21rocsparse_index_base_SB_SB_b,"axG",@progbits,_ZN9rocsparseL39bsrgeam_wf_per_row_multipass_2_3_kernelILj256ELj2ELj64EfEEv20rocsparse_direction_iiiNS_24const_host_device_scalarIT2_EEPKiS6_PKS3_S4_S6_S6_S8_S6_PiPS3_21rocsparse_index_base_SB_SB_b,comdat
.Lfunc_end1:
	.size	_ZN9rocsparseL39bsrgeam_wf_per_row_multipass_2_3_kernelILj256ELj2ELj64EfEEv20rocsparse_direction_iiiNS_24const_host_device_scalarIT2_EEPKiS6_PKS3_S4_S6_S6_S8_S6_PiPS3_21rocsparse_index_base_SB_SB_b, .Lfunc_end1-_ZN9rocsparseL39bsrgeam_wf_per_row_multipass_2_3_kernelILj256ELj2ELj64EfEEv20rocsparse_direction_iiiNS_24const_host_device_scalarIT2_EEPKiS6_PKS3_S4_S6_S6_S8_S6_PiPS3_21rocsparse_index_base_SB_SB_b
                                        ; -- End function
	.section	.AMDGPU.csdata,"",@progbits
; Kernel info:
; codeLenInByte = 1684
; NumSgprs: 40
; NumVgprs: 42
; NumAgprs: 0
; TotalNumVgprs: 42
; ScratchSize: 0
; MemoryBound: 0
; FloatMode: 240
; IeeeMode: 1
; LDSByteSize: 4352 bytes/workgroup (compile time only)
; SGPRBlocks: 4
; VGPRBlocks: 5
; NumSGPRsForWavesPerEU: 40
; NumVGPRsForWavesPerEU: 42
; AccumOffset: 44
; Occupancy: 8
; WaveLimiterHint : 1
; COMPUTE_PGM_RSRC2:SCRATCH_EN: 0
; COMPUTE_PGM_RSRC2:USER_SGPR: 6
; COMPUTE_PGM_RSRC2:TRAP_HANDLER: 0
; COMPUTE_PGM_RSRC2:TGID_X_EN: 1
; COMPUTE_PGM_RSRC2:TGID_Y_EN: 0
; COMPUTE_PGM_RSRC2:TGID_Z_EN: 0
; COMPUTE_PGM_RSRC2:TIDIG_COMP_CNT: 0
; COMPUTE_PGM_RSRC3_GFX90A:ACCUM_OFFSET: 10
; COMPUTE_PGM_RSRC3_GFX90A:TG_SPLIT: 0
	.section	.text._ZN9rocsparseL39bsrgeam_wf_per_row_multipass_2_3_kernelILj256ELj3ELj32EfEEv20rocsparse_direction_iiiNS_24const_host_device_scalarIT2_EEPKiS6_PKS3_S4_S6_S6_S8_S6_PiPS3_21rocsparse_index_base_SB_SB_b,"axG",@progbits,_ZN9rocsparseL39bsrgeam_wf_per_row_multipass_2_3_kernelILj256ELj3ELj32EfEEv20rocsparse_direction_iiiNS_24const_host_device_scalarIT2_EEPKiS6_PKS3_S4_S6_S6_S8_S6_PiPS3_21rocsparse_index_base_SB_SB_b,comdat
	.globl	_ZN9rocsparseL39bsrgeam_wf_per_row_multipass_2_3_kernelILj256ELj3ELj32EfEEv20rocsparse_direction_iiiNS_24const_host_device_scalarIT2_EEPKiS6_PKS3_S4_S6_S6_S8_S6_PiPS3_21rocsparse_index_base_SB_SB_b ; -- Begin function _ZN9rocsparseL39bsrgeam_wf_per_row_multipass_2_3_kernelILj256ELj3ELj32EfEEv20rocsparse_direction_iiiNS_24const_host_device_scalarIT2_EEPKiS6_PKS3_S4_S6_S6_S8_S6_PiPS3_21rocsparse_index_base_SB_SB_b
	.p2align	8
	.type	_ZN9rocsparseL39bsrgeam_wf_per_row_multipass_2_3_kernelILj256ELj3ELj32EfEEv20rocsparse_direction_iiiNS_24const_host_device_scalarIT2_EEPKiS6_PKS3_S4_S6_S6_S8_S6_PiPS3_21rocsparse_index_base_SB_SB_b,@function
_ZN9rocsparseL39bsrgeam_wf_per_row_multipass_2_3_kernelILj256ELj3ELj32EfEEv20rocsparse_direction_iiiNS_24const_host_device_scalarIT2_EEPKiS6_PKS3_S4_S6_S6_S8_S6_PiPS3_21rocsparse_index_base_SB_SB_b: ; @_ZN9rocsparseL39bsrgeam_wf_per_row_multipass_2_3_kernelILj256ELj3ELj32EfEEv20rocsparse_direction_iiiNS_24const_host_device_scalarIT2_EEPKiS6_PKS3_S4_S6_S6_S8_S6_PiPS3_21rocsparse_index_base_SB_SB_b
; %bb.0:
	s_load_dwordx4 s[8:11], s[4:5], 0x68
	s_load_dwordx2 s[28:29], s[4:5], 0x10
	s_load_dwordx2 s[30:31], s[4:5], 0x30
	s_waitcnt lgkmcnt(0)
	s_bitcmp1_b32 s11, 0
	s_cselect_b64 s[2:3], -1, 0
	s_xor_b64 s[0:1], s[2:3], -1
	s_and_b64 vcc, exec, s[2:3]
	s_cbranch_vccnz .LBB2_2
; %bb.1:
	s_load_dword s28, s[28:29], 0x0
.LBB2_2:
	s_andn2_b64 vcc, exec, s[0:1]
	s_cbranch_vccnz .LBB2_4
; %bb.3:
	s_load_dword s30, s[30:31], 0x0
.LBB2_4:
	s_nop 0
	s_load_dwordx4 s[12:15], s[4:5], 0x0
	s_lshl_b32 s0, s6, 3
	v_lshrrev_b32_e32 v1, 5, v0
	s_and_b32 s0, s0, 0x7fffff8
	v_or_b32_e32 v2, s0, v1
	s_waitcnt lgkmcnt(0)
	v_cmp_gt_i32_e32 vcc, s13, v2
	s_and_saveexec_b64 s[0:1], vcc
	s_cbranch_execz .LBB2_39
; %bb.5:
	s_load_dwordx4 s[16:19], s[4:5], 0x18
	s_load_dwordx4 s[20:23], s[4:5], 0x38
	s_load_dwordx2 s[0:1], s[4:5], 0x50
	v_lshlrev_b32_e32 v6, 2, v2
	s_waitcnt lgkmcnt(0)
	global_load_dwordx2 v[2:3], v6, s[16:17]
	global_load_dwordx2 v[4:5], v6, s[20:21]
	global_load_dword v10, v6, s[0:1]
	s_waitcnt vmcnt(2)
	v_subrev_u32_e32 v6, s8, v2
	v_cmp_lt_i32_e32 vcc, v2, v3
	v_mov_b32_e32 v2, s14
	s_and_saveexec_b64 s[0:1], vcc
	s_cbranch_execz .LBB2_7
; %bb.6:
	v_ashrrev_i32_e32 v7, 31, v6
	v_lshlrev_b64 v[8:9], 2, v[6:7]
	v_mov_b32_e32 v2, s19
	v_add_co_u32_e32 v8, vcc, s18, v8
	v_addc_co_u32_e32 v9, vcc, v2, v9, vcc
	global_load_dword v2, v[8:9], off
	s_waitcnt vmcnt(0)
	v_subrev_u32_e32 v2, s8, v2
.LBB2_7:
	s_or_b64 exec, exec, s[0:1]
	s_load_dwordx4 s[24:27], s[4:5], 0x58
	s_load_dwordx2 s[6:7], s[4:5], 0x28
	s_load_dwordx2 s[16:17], s[4:5], 0x48
	s_waitcnt vmcnt(1)
	v_subrev_u32_e32 v8, s9, v4
	v_cmp_lt_i32_e32 vcc, v4, v5
	v_mov_b32_e32 v4, s14
	s_and_saveexec_b64 s[0:1], vcc
	s_cbranch_execz .LBB2_9
; %bb.8:
	v_ashrrev_i32_e32 v9, 31, v8
	v_lshlrev_b64 v[12:13], 2, v[8:9]
	v_mov_b32_e32 v4, s23
	v_add_co_u32_e32 v12, vcc, s22, v12
	v_addc_co_u32_e32 v13, vcc, v4, v13, vcc
	global_load_dword v4, v[12:13], off
	s_waitcnt vmcnt(0)
	v_subrev_u32_e32 v4, s9, v4
.LBB2_9:
	s_or_b64 exec, exec, s[0:1]
	v_mul_u32_u24_e32 v1, 0x120, v1
	v_subrev_u32_e32 v24, s8, v3
	v_mbcnt_lo_u32_b32 v3, -1, 0
	v_lshlrev_b32_e32 v23, 2, v1
	v_and_b32_e32 v1, 31, v0
	v_mbcnt_hi_u32_b32 v3, -1, v3
	v_and_b32_e32 v7, 0xe0, v0
	v_min_i32_e32 v38, v4, v2
	v_add_u32_e32 v0, v6, v1
	v_and_b32_e32 v4, 64, v3
	v_xor_b32_e32 v6, 31, v1
	v_add_u32_e32 v4, 64, v4
	v_lshrrev_b32_e64 v28, v6, -1
	v_xor_b32_e32 v6, 16, v3
	v_cmp_lt_i32_e32 vcc, v6, v4
	v_cndmask_b32_e32 v6, v3, v6, vcc
	v_lshlrev_b32_e32 v30, 2, v6
	v_xor_b32_e32 v6, 8, v3
	v_cmp_lt_i32_e32 vcc, v6, v4
	v_cndmask_b32_e32 v6, v3, v6, vcc
	v_lshlrev_b32_e32 v31, 2, v6
	;; [unrolled: 4-line block ×3, first 2 shown]
	v_xor_b32_e32 v6, 2, v3
	v_cmp_lt_i32_e32 vcc, v6, v4
	v_cndmask_b32_e32 v6, v3, v6, vcc
	s_cmp_lg_u32 s12, 0
	v_lshlrev_b32_e32 v33, 2, v6
	v_xor_b32_e32 v6, 1, v3
	v_or_b32_e32 v22, 0x2400, v7
	s_cselect_b64 s[0:1], -1, 0
	v_cmp_lt_i32_e32 vcc, v6, v4
	v_add_u32_e32 v2, v8, v1
	v_mad_u32_u24 v27, v1, 36, v23
	s_cmp_eq_u32 s12, 0
	v_add_u32_e32 v29, s10, v1
	v_cndmask_b32_e32 v3, v3, v6, vcc
	v_add_u32_e32 v35, v22, v1
	v_cndmask_b32_e64 v1, 0, 1, s[0:1]
	v_subrev_u32_e32 v25, s9, v5
	s_waitcnt vmcnt(0)
	v_subrev_u32_e32 v26, s10, v10
	v_mov_b32_e32 v5, 0
	v_lshlrev_b32_e32 v34, 2, v3
	s_cselect_b32 s15, 4, 12
	s_cselect_b32 s33, 8, 24
	;; [unrolled: 1-line block ×6, first 2 shown]
	s_mov_b32 s29, s28
	s_mov_b32 s31, s30
	s_mov_b64 s[10:11], 0
	v_cmp_ne_u32_e64 s[0:1], 1, v1
	v_mov_b32_e32 v36, 1
	s_branch .LBB2_11
.LBB2_10:                               ;   in Loop: Header=BB2_11 Depth=1
	s_or_b64 exec, exec, s[4:5]
	ds_bpermute_b32 v1, v30, v37
	s_bcnt1_i32_b64 s2, vcc
	v_add_u32_e32 v26, s2, v26
	s_waitcnt lgkmcnt(0)
	v_min_i32_e32 v1, v1, v37
	ds_bpermute_b32 v3, v31, v1
	s_waitcnt lgkmcnt(0)
	v_min_i32_e32 v1, v3, v1
	ds_bpermute_b32 v3, v32, v1
	;; [unrolled: 3-line block ×4, first 2 shown]
	s_waitcnt lgkmcnt(0)
	v_min_i32_e32 v38, v3, v1
	v_cmp_le_i32_e32 vcc, s14, v38
	s_or_b64 s[10:11], vcc, s[10:11]
	s_andn2_b64 exec, exec, s[10:11]
	s_cbranch_execz .LBB2_39
.LBB2_11:                               ; =>This Loop Header: Depth=1
                                        ;     Child Loop BB2_14 Depth 2
                                        ;     Child Loop BB2_27 Depth 2
	v_cmp_lt_i32_e32 vcc, v0, v24
	v_mov_b32_e32 v37, s14
	ds_write_b8 v35, v5
	ds_write2_b32 v27, v5, v5 offset1:1
	ds_write2_b32 v27, v5, v5 offset0:2 offset1:3
	ds_write2_b32 v27, v5, v5 offset0:4 offset1:5
	;; [unrolled: 1-line block ×3, first 2 shown]
	ds_write_b32 v27, v5 offset:32
	s_waitcnt lgkmcnt(0)
	s_and_saveexec_b64 s[12:13], vcc
	s_cbranch_execz .LBB2_24
; %bb.12:                               ;   in Loop: Header=BB2_11 Depth=1
	v_mad_u64_u32 v[6:7], s[2:3], v0, 9, 8
	s_mov_b64 s[20:21], 0
	v_mov_b32_e32 v37, s14
	s_branch .LBB2_14
.LBB2_13:                               ;   in Loop: Header=BB2_14 Depth=2
	s_or_b64 exec, exec, s[34:35]
	s_and_b64 s[2:3], exec, s[4:5]
	s_or_b64 s[20:21], s[2:3], s[20:21]
	s_andn2_b64 exec, exec, s[20:21]
	s_cbranch_execz .LBB2_23
.LBB2_14:                               ;   Parent Loop BB2_11 Depth=1
                                        ; =>  This Inner Loop Header: Depth=2
	v_ashrrev_i32_e32 v1, 31, v0
	v_lshlrev_b64 v[8:9], 2, v[0:1]
	v_mov_b32_e32 v1, s19
	v_add_co_u32_e32 v8, vcc, s18, v8
	v_addc_co_u32_e32 v9, vcc, v1, v9, vcc
	global_load_dword v1, v[8:9], off
	s_waitcnt vmcnt(0)
	v_subrev_u32_e32 v3, s8, v1
	v_sub_u32_e32 v1, v3, v38
	v_cmp_gt_u32_e64 s[2:3], 32, v1
	v_cmp_lt_u32_e32 vcc, 31, v1
	s_and_saveexec_b64 s[4:5], vcc
	s_xor_b64 s[4:5], exec, s[4:5]
; %bb.15:                               ;   in Loop: Header=BB2_14 Depth=2
	v_min_i32_e32 v37, v3, v37
                                        ; implicit-def: $vgpr1
; %bb.16:                               ;   in Loop: Header=BB2_14 Depth=2
	s_andn2_saveexec_b64 s[34:35], s[4:5]
	s_cbranch_execz .LBB2_21
; %bb.17:                               ;   in Loop: Header=BB2_14 Depth=2
	v_add_u32_e32 v4, -8, v6
	v_lshlrev_b64 v[8:9], 2, v[4:5]
	v_mov_b32_e32 v3, s7
	v_add_co_u32_e32 v8, vcc, s6, v8
	v_addc_co_u32_e32 v9, vcc, v3, v9, vcc
	global_load_dword v7, v[8:9], off
	v_add_u32_e32 v4, v22, v1
	ds_write_b8 v4, v36
	v_add_u32_e32 v4, -4, v6
	v_lshlrev_b64 v[8:9], 2, v[4:5]
	v_mul_lo_u32 v1, v1, 36
	v_add_co_u32_e64 v8, s[4:5], s6, v8
	s_and_b64 vcc, exec, s[0:1]
	v_add_u32_e32 v12, -2, v6
	v_add_u32_e32 v18, -7, v6
	;; [unrolled: 1-line block ×4, first 2 shown]
	v_add_u32_e32 v1, v23, v1
	v_add_u32_e32 v4, -5, v6
	v_addc_co_u32_e64 v9, s[4:5], v3, v9, s[4:5]
	v_add_u32_e32 v14, -3, v6
	s_waitcnt vmcnt(0)
	v_mul_f32_e32 v3, s28, v7
	ds_write_b32 v1, v3
	s_cbranch_vccnz .LBB2_19
; %bb.18:                               ;   in Loop: Header=BB2_14 Depth=2
	v_lshlrev_b64 v[20:21], 2, v[4:5]
	v_mov_b32_e32 v3, s7
	v_add_co_u32_e32 v20, vcc, s6, v20
	v_mov_b32_e32 v13, v5
	v_addc_co_u32_e32 v21, vcc, v3, v21, vcc
	v_lshlrev_b64 v[40:41], 2, v[12:13]
	v_add_co_u32_e32 v40, vcc, s6, v40
	v_mov_b32_e32 v19, v5
	v_addc_co_u32_e32 v41, vcc, v3, v41, vcc
	v_lshlrev_b64 v[42:43], 2, v[18:19]
	;; [unrolled: 4-line block ×6, first 2 shown]
	v_add_co_u32_e32 v50, vcc, s6, v50
	v_addc_co_u32_e32 v51, vcc, v3, v51, vcc
	global_load_dword v53, v[40:41], off
	global_load_dword v54, v[42:43], off
	;; [unrolled: 1-line block ×8, first 2 shown]
	s_waitcnt vmcnt(4)
	v_pk_mul_f32 v[42:43], s[28:29], v[56:57]
	s_waitcnt vmcnt(2)
	v_pk_mul_f32 v[44:45], s[28:29], v[58:59]
	s_waitcnt vmcnt(1)
	v_pk_mul_f32 v[20:21], s[28:29], v[52:53]
	s_waitcnt vmcnt(0)
	v_pk_mul_f32 v[40:41], s[28:29], v[54:55]
	ds_write2_b32 v1, v20, v21 offset0:1 offset1:2
	ds_write2_b32 v1, v40, v41 offset0:3 offset1:4
	;; [unrolled: 1-line block ×4, first 2 shown]
	s_cbranch_execz .LBB2_20
	s_branch .LBB2_21
.LBB2_19:                               ;   in Loop: Header=BB2_14 Depth=2
.LBB2_20:                               ;   in Loop: Header=BB2_14 Depth=2
	v_mov_b32_e32 v19, v5
	v_lshlrev_b64 v[18:19], 2, v[18:19]
	v_mov_b32_e32 v3, s7
	v_add_co_u32_e32 v18, vcc, s6, v18
	v_mov_b32_e32 v17, v5
	v_addc_co_u32_e32 v19, vcc, v3, v19, vcc
	v_lshlrev_b64 v[16:17], 2, v[16:17]
	v_add_co_u32_e32 v16, vcc, s6, v16
	v_addc_co_u32_e32 v17, vcc, v3, v17, vcc
	v_lshlrev_b64 v[20:21], 2, v[4:5]
	v_add_co_u32_e32 v20, vcc, s6, v20
	v_mov_b32_e32 v15, v5
	v_addc_co_u32_e32 v21, vcc, v3, v21, vcc
	v_lshlrev_b64 v[14:15], 2, v[14:15]
	v_add_co_u32_e32 v14, vcc, s6, v14
	v_mov_b32_e32 v13, v5
	;; [unrolled: 4-line block ×4, first 2 shown]
	v_addc_co_u32_e32 v11, vcc, v3, v11, vcc
	v_lshlrev_b64 v[40:41], 2, v[6:7]
	v_add_co_u32_e32 v40, vcc, s6, v40
	v_addc_co_u32_e32 v41, vcc, v3, v41, vcc
	global_load_dword v43, v[16:17], off
	global_load_dword v44, v[20:21], off
	;; [unrolled: 1-line block ×8, first 2 shown]
	s_waitcnt vmcnt(4)
	v_pk_mul_f32 v[12:13], s[28:29], v[46:47]
	s_waitcnt vmcnt(2)
	v_pk_mul_f32 v[14:15], s[28:29], v[48:49]
	;; [unrolled: 2-line block ×4, first 2 shown]
	ds_write2_b32 v1, v8, v9 offset0:1 offset1:2
	ds_write2_b32 v1, v10, v11 offset0:3 offset1:4
	;; [unrolled: 1-line block ×4, first 2 shown]
.LBB2_21:                               ;   in Loop: Header=BB2_14 Depth=2
	s_or_b64 exec, exec, s[34:35]
	s_mov_b64 s[4:5], -1
	s_and_saveexec_b64 s[34:35], s[2:3]
	s_cbranch_execz .LBB2_13
; %bb.22:                               ;   in Loop: Header=BB2_14 Depth=2
	v_add_u32_e32 v0, 32, v0
	v_cmp_ge_i32_e32 vcc, v0, v24
	v_add_u32_e32 v6, 0x120, v6
	s_orn2_b64 s[4:5], vcc, exec
	s_branch .LBB2_13
.LBB2_23:                               ;   in Loop: Header=BB2_11 Depth=1
	s_or_b64 exec, exec, s[20:21]
.LBB2_24:                               ;   in Loop: Header=BB2_11 Depth=1
	s_or_b64 exec, exec, s[12:13]
	v_cmp_lt_i32_e32 vcc, v2, v25
	s_waitcnt lgkmcnt(0)
	s_and_saveexec_b64 s[12:13], vcc
	s_cbranch_execz .LBB2_37
; %bb.25:                               ;   in Loop: Header=BB2_11 Depth=1
	v_mad_u64_u32 v[6:7], s[2:3], v2, 9, 8
	s_mov_b64 s[20:21], 0
	s_branch .LBB2_27
.LBB2_26:                               ;   in Loop: Header=BB2_27 Depth=2
	s_or_b64 exec, exec, s[34:35]
	s_and_b64 s[2:3], exec, s[4:5]
	s_or_b64 s[20:21], s[2:3], s[20:21]
	s_andn2_b64 exec, exec, s[20:21]
	s_cbranch_execz .LBB2_36
.LBB2_27:                               ;   Parent Loop BB2_11 Depth=1
                                        ; =>  This Inner Loop Header: Depth=2
	v_ashrrev_i32_e32 v3, 31, v2
	v_lshlrev_b64 v[8:9], 2, v[2:3]
	v_mov_b32_e32 v1, s23
	v_add_co_u32_e32 v8, vcc, s22, v8
	v_addc_co_u32_e32 v9, vcc, v1, v9, vcc
	global_load_dword v1, v[8:9], off
	s_waitcnt vmcnt(0)
	v_subrev_u32_e32 v3, s9, v1
	v_sub_u32_e32 v1, v3, v38
	v_cmp_gt_u32_e64 s[2:3], 32, v1
	v_cmp_lt_u32_e32 vcc, 31, v1
	s_and_saveexec_b64 s[4:5], vcc
	s_xor_b64 s[4:5], exec, s[4:5]
; %bb.28:                               ;   in Loop: Header=BB2_27 Depth=2
	v_min_i32_e32 v37, v3, v37
                                        ; implicit-def: $vgpr1
; %bb.29:                               ;   in Loop: Header=BB2_27 Depth=2
	s_andn2_saveexec_b64 s[34:35], s[4:5]
	s_cbranch_execz .LBB2_34
; %bb.30:                               ;   in Loop: Header=BB2_27 Depth=2
	v_add_u32_e32 v4, -8, v6
	v_lshlrev_b64 v[8:9], 2, v[4:5]
	v_mov_b32_e32 v3, s17
	v_add_co_u32_e32 v8, vcc, s16, v8
	v_addc_co_u32_e32 v9, vcc, v3, v9, vcc
	global_load_dword v7, v[8:9], off
	v_add_u32_e32 v4, v22, v1
	v_mul_lo_u32 v1, v1, 36
	v_add_u32_e32 v1, v23, v1
	ds_read2_b32 v[8:9], v1 offset1:1
	ds_write_b8 v4, v36
	v_add_u32_e32 v4, -4, v6
	v_lshlrev_b64 v[14:15], 2, v[4:5]
	v_add_co_u32_e64 v16, s[4:5], s16, v14
	s_and_b64 vcc, exec, s[0:1]
	v_add_u32_e32 v12, -2, v6
	v_add_u32_e32 v20, -7, v6
	;; [unrolled: 1-line block ×5, first 2 shown]
	v_addc_co_u32_e64 v17, s[4:5], v3, v15, s[4:5]
	v_add_u32_e32 v14, -3, v6
	s_waitcnt vmcnt(0) lgkmcnt(1)
	v_fma_f32 v3, s30, v7, v8
	ds_write_b32 v1, v3
	s_cbranch_vccnz .LBB2_32
; %bb.31:                               ;   in Loop: Header=BB2_27 Depth=2
	v_lshlrev_b64 v[40:41], 2, v[4:5]
	v_mov_b32_e32 v3, s17
	v_add_co_u32_e32 v40, vcc, s16, v40
	v_mov_b32_e32 v13, v5
	v_addc_co_u32_e32 v41, vcc, v3, v41, vcc
	v_lshlrev_b64 v[42:43], 2, v[12:13]
	v_add_co_u32_e32 v42, vcc, s16, v42
	v_mov_b32_e32 v21, v5
	v_addc_co_u32_e32 v43, vcc, v3, v43, vcc
	v_lshlrev_b64 v[44:45], 2, v[20:21]
	;; [unrolled: 4-line block ×6, first 2 shown]
	v_add_co_u32_e32 v54, vcc, s16, v54
	global_load_dword v47, v[16:17], off
	v_addc_co_u32_e32 v55, vcc, v3, v55, vcc
	global_load_dword v56, v[40:41], off
	global_load_dword v57, v[42:43], off
	;; [unrolled: 1-line block ×7, first 2 shown]
	ds_read_b32 v41, v1 offset:8
	ds_read2_b32 v[42:43], v1 offset0:3 offset1:4
	ds_read2_b32 v[44:45], v1 offset0:5 offset1:6
	;; [unrolled: 1-line block ×3, first 2 shown]
	v_mov_b32_e32 v40, v9
	s_waitcnt vmcnt(5) lgkmcnt(3)
	v_pk_fma_f32 v[40:41], s[30:31], v[56:57], v[40:41]
	s_waitcnt vmcnt(4) lgkmcnt(2)
	v_pk_fma_f32 v[42:43], s[30:31], v[46:47], v[42:43]
	;; [unrolled: 2-line block ×4, first 2 shown]
	ds_write2_b32 v1, v40, v41 offset0:1 offset1:2
	ds_write2_b32 v1, v42, v43 offset0:3 offset1:4
	;; [unrolled: 1-line block ×4, first 2 shown]
	s_cbranch_execz .LBB2_33
	s_branch .LBB2_34
.LBB2_32:                               ;   in Loop: Header=BB2_27 Depth=2
.LBB2_33:                               ;   in Loop: Header=BB2_27 Depth=2
	v_mov_b32_e32 v21, v5
	v_lshlrev_b64 v[20:21], 2, v[20:21]
	v_mov_b32_e32 v3, s17
	v_add_co_u32_e32 v20, vcc, s16, v20
	v_mov_b32_e32 v19, v5
	v_addc_co_u32_e32 v21, vcc, v3, v21, vcc
	v_lshlrev_b64 v[18:19], 2, v[18:19]
	v_add_co_u32_e32 v18, vcc, s16, v18
	v_addc_co_u32_e32 v19, vcc, v3, v19, vcc
	v_lshlrev_b64 v[40:41], 2, v[4:5]
	v_add_co_u32_e32 v40, vcc, s16, v40
	v_mov_b32_e32 v15, v5
	v_addc_co_u32_e32 v41, vcc, v3, v41, vcc
	v_lshlrev_b64 v[14:15], 2, v[14:15]
	v_add_co_u32_e32 v14, vcc, s16, v14
	v_mov_b32_e32 v13, v5
	;; [unrolled: 4-line block ×4, first 2 shown]
	v_addc_co_u32_e32 v11, vcc, v3, v11, vcc
	v_lshlrev_b64 v[42:43], 2, v[6:7]
	v_add_co_u32_e32 v42, vcc, s16, v42
	global_load_dword v17, v[16:17], off
	v_addc_co_u32_e32 v43, vcc, v3, v43, vcc
	global_load_dword v44, v[20:21], off
	global_load_dword v45, v[18:19], off
	;; [unrolled: 1-line block ×7, first 2 shown]
	ds_read_b32 v11, v1 offset:8
	ds_read2_b32 v[12:13], v1 offset0:3 offset1:4
	ds_read2_b32 v[14:15], v1 offset0:5 offset1:6
	;; [unrolled: 1-line block ×3, first 2 shown]
	v_mov_b32_e32 v10, v9
	s_waitcnt vmcnt(5) lgkmcnt(3)
	v_pk_fma_f32 v[8:9], s[30:31], v[44:45], v[10:11]
	s_waitcnt vmcnt(4) lgkmcnt(2)
	v_pk_fma_f32 v[10:11], s[30:31], v[16:17], v[12:13]
	;; [unrolled: 2-line block ×4, first 2 shown]
	ds_write2_b32 v1, v8, v9 offset0:1 offset1:2
	ds_write2_b32 v1, v10, v11 offset0:3 offset1:4
	;; [unrolled: 1-line block ×4, first 2 shown]
.LBB2_34:                               ;   in Loop: Header=BB2_27 Depth=2
	s_or_b64 exec, exec, s[34:35]
	s_mov_b64 s[4:5], -1
	s_and_saveexec_b64 s[34:35], s[2:3]
	s_cbranch_execz .LBB2_26
; %bb.35:                               ;   in Loop: Header=BB2_27 Depth=2
	v_add_u32_e32 v2, 32, v2
	v_cmp_ge_i32_e32 vcc, v2, v25
	v_add_u32_e32 v6, 0x120, v6
	s_orn2_b64 s[4:5], vcc, exec
	s_branch .LBB2_26
.LBB2_36:                               ;   in Loop: Header=BB2_11 Depth=1
	s_or_b64 exec, exec, s[20:21]
.LBB2_37:                               ;   in Loop: Header=BB2_11 Depth=1
	s_or_b64 exec, exec, s[12:13]
	s_waitcnt lgkmcnt(0)
	ds_read_u8 v1, v35
	s_waitcnt lgkmcnt(0)
	v_and_b32_e32 v3, 1, v1
	v_cmp_eq_u32_e64 s[2:3], 1, v3
	v_cmp_ne_u16_e32 vcc, 0, v1
	s_and_saveexec_b64 s[4:5], s[2:3]
	s_cbranch_execz .LBB2_10
; %bb.38:                               ;   in Loop: Header=BB2_11 Depth=1
	v_and_b32_e32 v1, vcc_lo, v28
	v_bcnt_u32_b32 v1, v1, 0
	v_add3_u32 v6, v26, v1, -1
	v_ashrrev_i32_e32 v7, 31, v6
	v_lshlrev_b64 v[8:9], 2, v[6:7]
	v_mov_b32_e32 v1, s25
	v_add_co_u32_e64 v8, s[2:3], s24, v8
	v_add_u32_e32 v3, v29, v38
	v_addc_co_u32_e64 v9, s[2:3], v1, v9, s[2:3]
	global_store_dword v[8:9], v3, off
	ds_read2_b32 v[8:9], v27 offset1:4
	v_lshl_add_u32 v4, v6, 3, v6
	v_lshlrev_b64 v[6:7], 2, v[4:5]
	v_mov_b32_e32 v1, s27
	v_add_co_u32_e64 v6, s[2:3], s26, v6
	v_addc_co_u32_e64 v7, s[2:3], v1, v7, s[2:3]
	s_waitcnt lgkmcnt(0)
	global_store_dword v[6:7], v8, off
	v_add_u32_e32 v6, 1, v4
	v_mov_b32_e32 v7, v5
	v_lshlrev_b64 v[6:7], 2, v[6:7]
	v_add_co_u32_e64 v6, s[2:3], s26, v6
	v_add_u32_e32 v10, 2, v4
	v_mov_b32_e32 v11, v5
	v_addc_co_u32_e64 v7, s[2:3], v1, v7, s[2:3]
	v_lshlrev_b64 v[10:11], 2, v[10:11]
	v_add_co_u32_e64 v10, s[2:3], s26, v10
	v_add_u32_e32 v12, 3, v4
	v_mov_b32_e32 v13, v5
	v_addc_co_u32_e64 v11, s[2:3], v1, v11, s[2:3]
	;; [unrolled: 5-line block ×6, first 2 shown]
	v_lshlrev_b64 v[20:21], 2, v[20:21]
	v_add_co_u32_e64 v20, s[2:3], s26, v20
	v_add_u32_e32 v4, 8, v4
	v_addc_co_u32_e64 v21, s[2:3], v1, v21, s[2:3]
	v_lshlrev_b64 v[38:39], 2, v[4:5]
	v_add_co_u32_e64 v38, s[2:3], s26, v38
	v_addc_co_u32_e64 v39, s[2:3], v1, v39, s[2:3]
	v_add_u32_e32 v1, s15, v27
	v_add_u32_e32 v3, s33, v27
	;; [unrolled: 1-line block ×6, first 2 shown]
	ds_read_b32 v1, v1
	ds_read_b32 v3, v3
	;; [unrolled: 1-line block ×6, first 2 shown]
	ds_read_b32 v42, v27 offset:32
	s_waitcnt lgkmcnt(6)
	global_store_dword v[6:7], v1, off
	s_waitcnt lgkmcnt(5)
	global_store_dword v[10:11], v3, off
	;; [unrolled: 2-line block ×3, first 2 shown]
	global_store_dword v[14:15], v9, off
	s_waitcnt lgkmcnt(3)
	global_store_dword v[16:17], v8, off
	s_waitcnt lgkmcnt(2)
	;; [unrolled: 2-line block ×4, first 2 shown]
	global_store_dword v[38:39], v42, off
	s_branch .LBB2_10
.LBB2_39:
	s_endpgm
	.section	.rodata,"a",@progbits
	.p2align	6, 0x0
	.amdhsa_kernel _ZN9rocsparseL39bsrgeam_wf_per_row_multipass_2_3_kernelILj256ELj3ELj32EfEEv20rocsparse_direction_iiiNS_24const_host_device_scalarIT2_EEPKiS6_PKS3_S4_S6_S6_S8_S6_PiPS3_21rocsparse_index_base_SB_SB_b
		.amdhsa_group_segment_fixed_size 9472
		.amdhsa_private_segment_fixed_size 0
		.amdhsa_kernarg_size 120
		.amdhsa_user_sgpr_count 6
		.amdhsa_user_sgpr_private_segment_buffer 1
		.amdhsa_user_sgpr_dispatch_ptr 0
		.amdhsa_user_sgpr_queue_ptr 0
		.amdhsa_user_sgpr_kernarg_segment_ptr 1
		.amdhsa_user_sgpr_dispatch_id 0
		.amdhsa_user_sgpr_flat_scratch_init 0
		.amdhsa_user_sgpr_kernarg_preload_length 0
		.amdhsa_user_sgpr_kernarg_preload_offset 0
		.amdhsa_user_sgpr_private_segment_size 0
		.amdhsa_uses_dynamic_stack 0
		.amdhsa_system_sgpr_private_segment_wavefront_offset 0
		.amdhsa_system_sgpr_workgroup_id_x 1
		.amdhsa_system_sgpr_workgroup_id_y 0
		.amdhsa_system_sgpr_workgroup_id_z 0
		.amdhsa_system_sgpr_workgroup_info 0
		.amdhsa_system_vgpr_workitem_id 0
		.amdhsa_next_free_vgpr 62
		.amdhsa_next_free_sgpr 40
		.amdhsa_accum_offset 64
		.amdhsa_reserve_vcc 1
		.amdhsa_reserve_flat_scratch 0
		.amdhsa_float_round_mode_32 0
		.amdhsa_float_round_mode_16_64 0
		.amdhsa_float_denorm_mode_32 3
		.amdhsa_float_denorm_mode_16_64 3
		.amdhsa_dx10_clamp 1
		.amdhsa_ieee_mode 1
		.amdhsa_fp16_overflow 0
		.amdhsa_tg_split 0
		.amdhsa_exception_fp_ieee_invalid_op 0
		.amdhsa_exception_fp_denorm_src 0
		.amdhsa_exception_fp_ieee_div_zero 0
		.amdhsa_exception_fp_ieee_overflow 0
		.amdhsa_exception_fp_ieee_underflow 0
		.amdhsa_exception_fp_ieee_inexact 0
		.amdhsa_exception_int_div_zero 0
	.end_amdhsa_kernel
	.section	.text._ZN9rocsparseL39bsrgeam_wf_per_row_multipass_2_3_kernelILj256ELj3ELj32EfEEv20rocsparse_direction_iiiNS_24const_host_device_scalarIT2_EEPKiS6_PKS3_S4_S6_S6_S8_S6_PiPS3_21rocsparse_index_base_SB_SB_b,"axG",@progbits,_ZN9rocsparseL39bsrgeam_wf_per_row_multipass_2_3_kernelILj256ELj3ELj32EfEEv20rocsparse_direction_iiiNS_24const_host_device_scalarIT2_EEPKiS6_PKS3_S4_S6_S6_S8_S6_PiPS3_21rocsparse_index_base_SB_SB_b,comdat
.Lfunc_end2:
	.size	_ZN9rocsparseL39bsrgeam_wf_per_row_multipass_2_3_kernelILj256ELj3ELj32EfEEv20rocsparse_direction_iiiNS_24const_host_device_scalarIT2_EEPKiS6_PKS3_S4_S6_S6_S8_S6_PiPS3_21rocsparse_index_base_SB_SB_b, .Lfunc_end2-_ZN9rocsparseL39bsrgeam_wf_per_row_multipass_2_3_kernelILj256ELj3ELj32EfEEv20rocsparse_direction_iiiNS_24const_host_device_scalarIT2_EEPKiS6_PKS3_S4_S6_S6_S8_S6_PiPS3_21rocsparse_index_base_SB_SB_b
                                        ; -- End function
	.section	.AMDGPU.csdata,"",@progbits
; Kernel info:
; codeLenInByte = 3212
; NumSgprs: 44
; NumVgprs: 62
; NumAgprs: 0
; TotalNumVgprs: 62
; ScratchSize: 0
; MemoryBound: 0
; FloatMode: 240
; IeeeMode: 1
; LDSByteSize: 9472 bytes/workgroup (compile time only)
; SGPRBlocks: 5
; VGPRBlocks: 7
; NumSGPRsForWavesPerEU: 44
; NumVGPRsForWavesPerEU: 62
; AccumOffset: 64
; Occupancy: 6
; WaveLimiterHint : 1
; COMPUTE_PGM_RSRC2:SCRATCH_EN: 0
; COMPUTE_PGM_RSRC2:USER_SGPR: 6
; COMPUTE_PGM_RSRC2:TRAP_HANDLER: 0
; COMPUTE_PGM_RSRC2:TGID_X_EN: 1
; COMPUTE_PGM_RSRC2:TGID_Y_EN: 0
; COMPUTE_PGM_RSRC2:TGID_Z_EN: 0
; COMPUTE_PGM_RSRC2:TIDIG_COMP_CNT: 0
; COMPUTE_PGM_RSRC3_GFX90A:ACCUM_OFFSET: 15
; COMPUTE_PGM_RSRC3_GFX90A:TG_SPLIT: 0
	.section	.text._ZN9rocsparseL39bsrgeam_wf_per_row_multipass_2_3_kernelILj256ELj3ELj64EfEEv20rocsparse_direction_iiiNS_24const_host_device_scalarIT2_EEPKiS6_PKS3_S4_S6_S6_S8_S6_PiPS3_21rocsparse_index_base_SB_SB_b,"axG",@progbits,_ZN9rocsparseL39bsrgeam_wf_per_row_multipass_2_3_kernelILj256ELj3ELj64EfEEv20rocsparse_direction_iiiNS_24const_host_device_scalarIT2_EEPKiS6_PKS3_S4_S6_S6_S8_S6_PiPS3_21rocsparse_index_base_SB_SB_b,comdat
	.globl	_ZN9rocsparseL39bsrgeam_wf_per_row_multipass_2_3_kernelILj256ELj3ELj64EfEEv20rocsparse_direction_iiiNS_24const_host_device_scalarIT2_EEPKiS6_PKS3_S4_S6_S6_S8_S6_PiPS3_21rocsparse_index_base_SB_SB_b ; -- Begin function _ZN9rocsparseL39bsrgeam_wf_per_row_multipass_2_3_kernelILj256ELj3ELj64EfEEv20rocsparse_direction_iiiNS_24const_host_device_scalarIT2_EEPKiS6_PKS3_S4_S6_S6_S8_S6_PiPS3_21rocsparse_index_base_SB_SB_b
	.p2align	8
	.type	_ZN9rocsparseL39bsrgeam_wf_per_row_multipass_2_3_kernelILj256ELj3ELj64EfEEv20rocsparse_direction_iiiNS_24const_host_device_scalarIT2_EEPKiS6_PKS3_S4_S6_S6_S8_S6_PiPS3_21rocsparse_index_base_SB_SB_b,@function
_ZN9rocsparseL39bsrgeam_wf_per_row_multipass_2_3_kernelILj256ELj3ELj64EfEEv20rocsparse_direction_iiiNS_24const_host_device_scalarIT2_EEPKiS6_PKS3_S4_S6_S6_S8_S6_PiPS3_21rocsparse_index_base_SB_SB_b: ; @_ZN9rocsparseL39bsrgeam_wf_per_row_multipass_2_3_kernelILj256ELj3ELj64EfEEv20rocsparse_direction_iiiNS_24const_host_device_scalarIT2_EEPKiS6_PKS3_S4_S6_S6_S8_S6_PiPS3_21rocsparse_index_base_SB_SB_b
; %bb.0:
	s_load_dwordx4 s[8:11], s[4:5], 0x68
	s_load_dwordx2 s[28:29], s[4:5], 0x10
	s_load_dwordx2 s[30:31], s[4:5], 0x30
	s_waitcnt lgkmcnt(0)
	s_bitcmp1_b32 s11, 0
	s_cselect_b64 s[2:3], -1, 0
	s_xor_b64 s[0:1], s[2:3], -1
	s_and_b64 vcc, exec, s[2:3]
	s_cbranch_vccnz .LBB3_2
; %bb.1:
	s_load_dword s28, s[28:29], 0x0
.LBB3_2:
	s_andn2_b64 vcc, exec, s[0:1]
	s_cbranch_vccnz .LBB3_4
; %bb.3:
	s_load_dword s30, s[30:31], 0x0
.LBB3_4:
	s_nop 0
	s_load_dwordx4 s[12:15], s[4:5], 0x0
	s_lshl_b32 s0, s6, 2
	v_lshrrev_b32_e32 v1, 6, v0
	s_and_b32 s0, s0, 0x3fffffc
	v_or_b32_e32 v2, s0, v1
	s_waitcnt lgkmcnt(0)
	v_cmp_gt_i32_e32 vcc, s13, v2
	s_and_saveexec_b64 s[0:1], vcc
	s_cbranch_execz .LBB3_39
; %bb.5:
	s_load_dwordx4 s[16:19], s[4:5], 0x18
	s_load_dwordx4 s[20:23], s[4:5], 0x38
	s_load_dwordx2 s[0:1], s[4:5], 0x50
	v_lshlrev_b32_e32 v6, 2, v2
	s_waitcnt lgkmcnt(0)
	global_load_dwordx2 v[2:3], v6, s[16:17]
	global_load_dwordx2 v[4:5], v6, s[20:21]
	global_load_dword v10, v6, s[0:1]
	s_waitcnt vmcnt(2)
	v_subrev_u32_e32 v6, s8, v2
	v_cmp_lt_i32_e32 vcc, v2, v3
	v_mov_b32_e32 v2, s14
	s_and_saveexec_b64 s[0:1], vcc
	s_cbranch_execz .LBB3_7
; %bb.6:
	v_ashrrev_i32_e32 v7, 31, v6
	v_lshlrev_b64 v[8:9], 2, v[6:7]
	v_mov_b32_e32 v2, s19
	v_add_co_u32_e32 v8, vcc, s18, v8
	v_addc_co_u32_e32 v9, vcc, v2, v9, vcc
	global_load_dword v2, v[8:9], off
	s_waitcnt vmcnt(0)
	v_subrev_u32_e32 v2, s8, v2
.LBB3_7:
	s_or_b64 exec, exec, s[0:1]
	s_load_dwordx4 s[24:27], s[4:5], 0x58
	s_load_dwordx2 s[6:7], s[4:5], 0x28
	s_load_dwordx2 s[16:17], s[4:5], 0x48
	s_waitcnt vmcnt(1)
	v_subrev_u32_e32 v8, s9, v4
	v_cmp_lt_i32_e32 vcc, v4, v5
	v_mov_b32_e32 v4, s14
	s_and_saveexec_b64 s[0:1], vcc
	s_cbranch_execz .LBB3_9
; %bb.8:
	v_ashrrev_i32_e32 v9, 31, v8
	v_lshlrev_b64 v[12:13], 2, v[8:9]
	v_mov_b32_e32 v4, s23
	v_add_co_u32_e32 v12, vcc, s22, v12
	v_addc_co_u32_e32 v13, vcc, v4, v13, vcc
	global_load_dword v4, v[12:13], off
	s_waitcnt vmcnt(0)
	v_subrev_u32_e32 v4, s9, v4
.LBB3_9:
	s_or_b64 exec, exec, s[0:1]
	v_subrev_u32_e32 v26, s8, v3
	v_mbcnt_lo_u32_b32 v3, -1, 0
	v_mul_u32_u24_e32 v1, 0x240, v1
	v_mbcnt_hi_u32_b32 v3, -1, v3
	v_lshlrev_b32_e32 v25, 2, v1
	v_and_b32_e32 v1, 63, v0
	v_min_i32_e32 v40, v4, v2
	v_and_b32_e32 v4, 64, v3
	v_add_u32_e32 v2, v8, v1
	v_add_u32_e32 v4, 64, v4
	v_xor_b32_e32 v8, 32, v3
	v_cmp_lt_i32_e32 vcc, v8, v4
	v_cndmask_b32_e32 v8, v3, v8, vcc
	v_lshlrev_b32_e32 v31, 2, v8
	v_xor_b32_e32 v8, 16, v3
	v_cmp_lt_i32_e32 vcc, v8, v4
	v_cndmask_b32_e32 v8, v3, v8, vcc
	v_lshlrev_b32_e32 v32, 2, v8
	;; [unrolled: 4-line block ×4, first 2 shown]
	v_xor_b32_e32 v8, 2, v3
	v_cmp_lt_i32_e32 vcc, v8, v4
	v_cndmask_b32_e32 v8, v3, v8, vcc
	v_and_b32_e32 v7, 0xc0, v0
	s_cmp_lg_u32 s12, 0
	v_lshlrev_b32_e32 v35, 2, v8
	v_xor_b32_e32 v8, 1, v3
	v_or_b32_e32 v24, 0x2400, v7
	s_cselect_b64 s[0:1], -1, 0
	v_cmp_lt_i32_e32 vcc, v8, v4
	v_add_u32_e32 v0, v6, v1
	v_mad_u32_u24 v29, v1, 36, v25
	s_cmp_eq_u32 s12, 0
	v_xor_b32_e32 v6, 63, v1
	v_add_u32_e32 v30, s10, v1
	v_cndmask_b32_e32 v3, v3, v8, vcc
	v_add_u32_e32 v37, v24, v1
	v_cndmask_b32_e64 v1, 0, 1, s[0:1]
	v_subrev_u32_e32 v27, s9, v5
	s_waitcnt vmcnt(0)
	v_subrev_u32_e32 v28, s10, v10
	v_mov_b32_e32 v5, 0
	v_lshrrev_b64 v[6:7], v6, -1
	v_lshlrev_b32_e32 v36, 2, v3
	s_cselect_b32 s15, 4, 12
	s_cselect_b32 s33, 8, 24
	;; [unrolled: 1-line block ×6, first 2 shown]
	s_mov_b32 s29, s28
	s_mov_b32 s31, s30
	s_mov_b64 s[10:11], 0
	v_cmp_ne_u32_e64 s[0:1], 1, v1
	v_mov_b32_e32 v38, 1
	s_branch .LBB3_11
.LBB3_10:                               ;   in Loop: Header=BB3_11 Depth=1
	s_or_b64 exec, exec, s[4:5]
	ds_bpermute_b32 v1, v31, v39
	s_bcnt1_i32_b64 s2, vcc
	v_add_u32_e32 v28, s2, v28
	s_waitcnt lgkmcnt(0)
	v_min_i32_e32 v1, v1, v39
	ds_bpermute_b32 v3, v32, v1
	s_waitcnt lgkmcnt(0)
	v_min_i32_e32 v1, v3, v1
	ds_bpermute_b32 v3, v33, v1
	;; [unrolled: 3-line block ×5, first 2 shown]
	s_waitcnt lgkmcnt(0)
	v_min_i32_e32 v40, v3, v1
	v_cmp_le_i32_e32 vcc, s14, v40
	s_or_b64 s[10:11], vcc, s[10:11]
	s_andn2_b64 exec, exec, s[10:11]
	s_cbranch_execz .LBB3_39
.LBB3_11:                               ; =>This Loop Header: Depth=1
                                        ;     Child Loop BB3_14 Depth 2
                                        ;     Child Loop BB3_27 Depth 2
	v_cmp_lt_i32_e32 vcc, v0, v26
	v_mov_b32_e32 v39, s14
	ds_write_b8 v37, v5
	ds_write2_b32 v29, v5, v5 offset1:1
	ds_write2_b32 v29, v5, v5 offset0:2 offset1:3
	ds_write2_b32 v29, v5, v5 offset0:4 offset1:5
	;; [unrolled: 1-line block ×3, first 2 shown]
	ds_write_b32 v29, v5 offset:32
	s_waitcnt lgkmcnt(0)
	s_and_saveexec_b64 s[12:13], vcc
	s_cbranch_execz .LBB3_24
; %bb.12:                               ;   in Loop: Header=BB3_11 Depth=1
	v_mad_u64_u32 v[8:9], s[2:3], v0, 9, 8
	s_mov_b64 s[20:21], 0
	v_mov_b32_e32 v39, s14
	s_branch .LBB3_14
.LBB3_13:                               ;   in Loop: Header=BB3_14 Depth=2
	s_or_b64 exec, exec, s[34:35]
	s_and_b64 s[2:3], exec, s[4:5]
	s_or_b64 s[20:21], s[2:3], s[20:21]
	s_andn2_b64 exec, exec, s[20:21]
	s_cbranch_execz .LBB3_23
.LBB3_14:                               ;   Parent Loop BB3_11 Depth=1
                                        ; =>  This Inner Loop Header: Depth=2
	v_ashrrev_i32_e32 v1, 31, v0
	v_lshlrev_b64 v[10:11], 2, v[0:1]
	v_mov_b32_e32 v1, s19
	v_add_co_u32_e32 v10, vcc, s18, v10
	v_addc_co_u32_e32 v11, vcc, v1, v11, vcc
	global_load_dword v1, v[10:11], off
	s_waitcnt vmcnt(0)
	v_subrev_u32_e32 v3, s8, v1
	v_sub_u32_e32 v1, v3, v40
	v_cmp_gt_u32_e64 s[2:3], 64, v1
	v_cmp_lt_u32_e32 vcc, 63, v1
	s_and_saveexec_b64 s[4:5], vcc
	s_xor_b64 s[4:5], exec, s[4:5]
; %bb.15:                               ;   in Loop: Header=BB3_14 Depth=2
	v_min_i32_e32 v39, v3, v39
                                        ; implicit-def: $vgpr1
; %bb.16:                               ;   in Loop: Header=BB3_14 Depth=2
	s_andn2_saveexec_b64 s[34:35], s[4:5]
	s_cbranch_execz .LBB3_21
; %bb.17:                               ;   in Loop: Header=BB3_14 Depth=2
	v_add_u32_e32 v4, -8, v8
	v_lshlrev_b64 v[10:11], 2, v[4:5]
	v_mov_b32_e32 v3, s7
	v_add_co_u32_e32 v10, vcc, s6, v10
	v_addc_co_u32_e32 v11, vcc, v3, v11, vcc
	global_load_dword v9, v[10:11], off
	v_add_u32_e32 v4, v24, v1
	ds_write_b8 v4, v38
	v_add_u32_e32 v4, -4, v8
	v_lshlrev_b64 v[10:11], 2, v[4:5]
	v_mul_lo_u32 v1, v1, 36
	v_add_co_u32_e64 v10, s[4:5], s6, v10
	s_and_b64 vcc, exec, s[0:1]
	v_add_u32_e32 v14, -2, v8
	v_add_u32_e32 v20, -7, v8
	;; [unrolled: 1-line block ×4, first 2 shown]
	v_add_u32_e32 v1, v25, v1
	v_add_u32_e32 v4, -5, v8
	v_addc_co_u32_e64 v11, s[4:5], v3, v11, s[4:5]
	v_add_u32_e32 v16, -3, v8
	s_waitcnt vmcnt(0)
	v_mul_f32_e32 v3, s28, v9
	ds_write_b32 v1, v3
	s_cbranch_vccnz .LBB3_19
; %bb.18:                               ;   in Loop: Header=BB3_14 Depth=2
	v_lshlrev_b64 v[22:23], 2, v[4:5]
	v_mov_b32_e32 v3, s7
	v_add_co_u32_e32 v22, vcc, s6, v22
	v_mov_b32_e32 v15, v5
	v_addc_co_u32_e32 v23, vcc, v3, v23, vcc
	v_lshlrev_b64 v[42:43], 2, v[14:15]
	v_add_co_u32_e32 v42, vcc, s6, v42
	v_mov_b32_e32 v21, v5
	v_addc_co_u32_e32 v43, vcc, v3, v43, vcc
	v_lshlrev_b64 v[44:45], 2, v[20:21]
	;; [unrolled: 4-line block ×6, first 2 shown]
	v_add_co_u32_e32 v52, vcc, s6, v52
	v_addc_co_u32_e32 v53, vcc, v3, v53, vcc
	global_load_dword v55, v[42:43], off
	global_load_dword v56, v[44:45], off
	;; [unrolled: 1-line block ×8, first 2 shown]
	s_waitcnt vmcnt(4)
	v_pk_mul_f32 v[44:45], s[28:29], v[58:59]
	s_waitcnt vmcnt(2)
	v_pk_mul_f32 v[46:47], s[28:29], v[60:61]
	;; [unrolled: 2-line block ×4, first 2 shown]
	ds_write2_b32 v1, v22, v23 offset0:1 offset1:2
	ds_write2_b32 v1, v42, v43 offset0:3 offset1:4
	ds_write2_b32 v1, v44, v45 offset0:5 offset1:6
	ds_write2_b32 v1, v46, v47 offset0:7 offset1:8
	s_cbranch_execz .LBB3_20
	s_branch .LBB3_21
.LBB3_19:                               ;   in Loop: Header=BB3_14 Depth=2
.LBB3_20:                               ;   in Loop: Header=BB3_14 Depth=2
	v_mov_b32_e32 v21, v5
	v_lshlrev_b64 v[20:21], 2, v[20:21]
	v_mov_b32_e32 v3, s7
	v_add_co_u32_e32 v20, vcc, s6, v20
	v_mov_b32_e32 v19, v5
	v_addc_co_u32_e32 v21, vcc, v3, v21, vcc
	v_lshlrev_b64 v[18:19], 2, v[18:19]
	v_add_co_u32_e32 v18, vcc, s6, v18
	v_addc_co_u32_e32 v19, vcc, v3, v19, vcc
	v_lshlrev_b64 v[22:23], 2, v[4:5]
	v_add_co_u32_e32 v22, vcc, s6, v22
	v_mov_b32_e32 v17, v5
	v_addc_co_u32_e32 v23, vcc, v3, v23, vcc
	v_lshlrev_b64 v[16:17], 2, v[16:17]
	v_add_co_u32_e32 v16, vcc, s6, v16
	v_mov_b32_e32 v15, v5
	;; [unrolled: 4-line block ×4, first 2 shown]
	v_addc_co_u32_e32 v13, vcc, v3, v13, vcc
	v_lshlrev_b64 v[42:43], 2, v[8:9]
	v_add_co_u32_e32 v42, vcc, s6, v42
	v_addc_co_u32_e32 v43, vcc, v3, v43, vcc
	global_load_dword v45, v[18:19], off
	global_load_dword v46, v[22:23], off
	;; [unrolled: 1-line block ×8, first 2 shown]
	s_waitcnt vmcnt(4)
	v_pk_mul_f32 v[14:15], s[28:29], v[48:49]
	s_waitcnt vmcnt(2)
	v_pk_mul_f32 v[16:17], s[28:29], v[50:51]
	;; [unrolled: 2-line block ×4, first 2 shown]
	ds_write2_b32 v1, v10, v11 offset0:1 offset1:2
	ds_write2_b32 v1, v12, v13 offset0:3 offset1:4
	;; [unrolled: 1-line block ×4, first 2 shown]
.LBB3_21:                               ;   in Loop: Header=BB3_14 Depth=2
	s_or_b64 exec, exec, s[34:35]
	s_mov_b64 s[4:5], -1
	s_and_saveexec_b64 s[34:35], s[2:3]
	s_cbranch_execz .LBB3_13
; %bb.22:                               ;   in Loop: Header=BB3_14 Depth=2
	v_add_u32_e32 v0, 64, v0
	v_cmp_ge_i32_e32 vcc, v0, v26
	v_add_u32_e32 v8, 0x240, v8
	s_orn2_b64 s[4:5], vcc, exec
	s_branch .LBB3_13
.LBB3_23:                               ;   in Loop: Header=BB3_11 Depth=1
	s_or_b64 exec, exec, s[20:21]
.LBB3_24:                               ;   in Loop: Header=BB3_11 Depth=1
	s_or_b64 exec, exec, s[12:13]
	v_cmp_lt_i32_e32 vcc, v2, v27
	s_waitcnt lgkmcnt(0)
	s_and_saveexec_b64 s[12:13], vcc
	s_cbranch_execz .LBB3_37
; %bb.25:                               ;   in Loop: Header=BB3_11 Depth=1
	v_mad_u64_u32 v[8:9], s[2:3], v2, 9, 8
	s_mov_b64 s[20:21], 0
	s_branch .LBB3_27
.LBB3_26:                               ;   in Loop: Header=BB3_27 Depth=2
	s_or_b64 exec, exec, s[34:35]
	s_and_b64 s[2:3], exec, s[4:5]
	s_or_b64 s[20:21], s[2:3], s[20:21]
	s_andn2_b64 exec, exec, s[20:21]
	s_cbranch_execz .LBB3_36
.LBB3_27:                               ;   Parent Loop BB3_11 Depth=1
                                        ; =>  This Inner Loop Header: Depth=2
	v_ashrrev_i32_e32 v3, 31, v2
	v_lshlrev_b64 v[10:11], 2, v[2:3]
	v_mov_b32_e32 v1, s23
	v_add_co_u32_e32 v10, vcc, s22, v10
	v_addc_co_u32_e32 v11, vcc, v1, v11, vcc
	global_load_dword v1, v[10:11], off
	s_waitcnt vmcnt(0)
	v_subrev_u32_e32 v3, s9, v1
	v_sub_u32_e32 v1, v3, v40
	v_cmp_gt_u32_e64 s[2:3], 64, v1
	v_cmp_lt_u32_e32 vcc, 63, v1
	s_and_saveexec_b64 s[4:5], vcc
	s_xor_b64 s[4:5], exec, s[4:5]
; %bb.28:                               ;   in Loop: Header=BB3_27 Depth=2
	v_min_i32_e32 v39, v3, v39
                                        ; implicit-def: $vgpr1
; %bb.29:                               ;   in Loop: Header=BB3_27 Depth=2
	s_andn2_saveexec_b64 s[34:35], s[4:5]
	s_cbranch_execz .LBB3_34
; %bb.30:                               ;   in Loop: Header=BB3_27 Depth=2
	v_add_u32_e32 v4, -8, v8
	v_lshlrev_b64 v[10:11], 2, v[4:5]
	v_mov_b32_e32 v3, s17
	v_add_co_u32_e32 v10, vcc, s16, v10
	v_addc_co_u32_e32 v11, vcc, v3, v11, vcc
	global_load_dword v9, v[10:11], off
	v_add_u32_e32 v4, v24, v1
	v_mul_lo_u32 v1, v1, 36
	v_add_u32_e32 v1, v25, v1
	ds_read2_b32 v[10:11], v1 offset1:1
	ds_write_b8 v4, v38
	v_add_u32_e32 v4, -4, v8
	v_lshlrev_b64 v[16:17], 2, v[4:5]
	v_add_co_u32_e64 v18, s[4:5], s16, v16
	s_and_b64 vcc, exec, s[0:1]
	v_add_u32_e32 v14, -2, v8
	v_add_u32_e32 v22, -7, v8
	;; [unrolled: 1-line block ×5, first 2 shown]
	v_addc_co_u32_e64 v19, s[4:5], v3, v17, s[4:5]
	v_add_u32_e32 v16, -3, v8
	s_waitcnt vmcnt(0) lgkmcnt(1)
	v_fma_f32 v3, s30, v9, v10
	ds_write_b32 v1, v3
	s_cbranch_vccnz .LBB3_32
; %bb.31:                               ;   in Loop: Header=BB3_27 Depth=2
	v_lshlrev_b64 v[42:43], 2, v[4:5]
	v_mov_b32_e32 v3, s17
	v_add_co_u32_e32 v42, vcc, s16, v42
	v_mov_b32_e32 v15, v5
	v_addc_co_u32_e32 v43, vcc, v3, v43, vcc
	v_lshlrev_b64 v[44:45], 2, v[14:15]
	v_add_co_u32_e32 v44, vcc, s16, v44
	v_mov_b32_e32 v23, v5
	v_addc_co_u32_e32 v45, vcc, v3, v45, vcc
	v_lshlrev_b64 v[46:47], 2, v[22:23]
	;; [unrolled: 4-line block ×6, first 2 shown]
	v_add_co_u32_e32 v56, vcc, s16, v56
	global_load_dword v49, v[18:19], off
	v_addc_co_u32_e32 v57, vcc, v3, v57, vcc
	global_load_dword v58, v[42:43], off
	global_load_dword v59, v[44:45], off
	;; [unrolled: 1-line block ×7, first 2 shown]
	ds_read_b32 v43, v1 offset:8
	ds_read2_b32 v[44:45], v1 offset0:3 offset1:4
	ds_read2_b32 v[46:47], v1 offset0:5 offset1:6
	ds_read2_b32 v[50:51], v1 offset0:7 offset1:8
	v_mov_b32_e32 v42, v11
	s_waitcnt vmcnt(5) lgkmcnt(3)
	v_pk_fma_f32 v[42:43], s[30:31], v[58:59], v[42:43]
	s_waitcnt vmcnt(4) lgkmcnt(2)
	v_pk_fma_f32 v[44:45], s[30:31], v[48:49], v[44:45]
	;; [unrolled: 2-line block ×4, first 2 shown]
	ds_write2_b32 v1, v42, v43 offset0:1 offset1:2
	ds_write2_b32 v1, v44, v45 offset0:3 offset1:4
	;; [unrolled: 1-line block ×4, first 2 shown]
	s_cbranch_execz .LBB3_33
	s_branch .LBB3_34
.LBB3_32:                               ;   in Loop: Header=BB3_27 Depth=2
.LBB3_33:                               ;   in Loop: Header=BB3_27 Depth=2
	v_mov_b32_e32 v23, v5
	v_lshlrev_b64 v[22:23], 2, v[22:23]
	v_mov_b32_e32 v3, s17
	v_add_co_u32_e32 v22, vcc, s16, v22
	v_mov_b32_e32 v21, v5
	v_addc_co_u32_e32 v23, vcc, v3, v23, vcc
	v_lshlrev_b64 v[20:21], 2, v[20:21]
	v_add_co_u32_e32 v20, vcc, s16, v20
	v_addc_co_u32_e32 v21, vcc, v3, v21, vcc
	v_lshlrev_b64 v[42:43], 2, v[4:5]
	v_add_co_u32_e32 v42, vcc, s16, v42
	v_mov_b32_e32 v17, v5
	v_addc_co_u32_e32 v43, vcc, v3, v43, vcc
	v_lshlrev_b64 v[16:17], 2, v[16:17]
	v_add_co_u32_e32 v16, vcc, s16, v16
	v_mov_b32_e32 v15, v5
	;; [unrolled: 4-line block ×4, first 2 shown]
	v_addc_co_u32_e32 v13, vcc, v3, v13, vcc
	v_lshlrev_b64 v[44:45], 2, v[8:9]
	v_add_co_u32_e32 v44, vcc, s16, v44
	global_load_dword v19, v[18:19], off
	v_addc_co_u32_e32 v45, vcc, v3, v45, vcc
	global_load_dword v46, v[22:23], off
	global_load_dword v47, v[20:21], off
	;; [unrolled: 1-line block ×7, first 2 shown]
	ds_read_b32 v13, v1 offset:8
	ds_read2_b32 v[14:15], v1 offset0:3 offset1:4
	ds_read2_b32 v[16:17], v1 offset0:5 offset1:6
	;; [unrolled: 1-line block ×3, first 2 shown]
	v_mov_b32_e32 v12, v11
	s_waitcnt vmcnt(5) lgkmcnt(3)
	v_pk_fma_f32 v[10:11], s[30:31], v[46:47], v[12:13]
	s_waitcnt vmcnt(4) lgkmcnt(2)
	v_pk_fma_f32 v[12:13], s[30:31], v[18:19], v[14:15]
	;; [unrolled: 2-line block ×4, first 2 shown]
	ds_write2_b32 v1, v10, v11 offset0:1 offset1:2
	ds_write2_b32 v1, v12, v13 offset0:3 offset1:4
	;; [unrolled: 1-line block ×4, first 2 shown]
.LBB3_34:                               ;   in Loop: Header=BB3_27 Depth=2
	s_or_b64 exec, exec, s[34:35]
	s_mov_b64 s[4:5], -1
	s_and_saveexec_b64 s[34:35], s[2:3]
	s_cbranch_execz .LBB3_26
; %bb.35:                               ;   in Loop: Header=BB3_27 Depth=2
	v_add_u32_e32 v2, 64, v2
	v_cmp_ge_i32_e32 vcc, v2, v27
	v_add_u32_e32 v8, 0x240, v8
	s_orn2_b64 s[4:5], vcc, exec
	s_branch .LBB3_26
.LBB3_36:                               ;   in Loop: Header=BB3_11 Depth=1
	s_or_b64 exec, exec, s[20:21]
.LBB3_37:                               ;   in Loop: Header=BB3_11 Depth=1
	s_or_b64 exec, exec, s[12:13]
	s_waitcnt lgkmcnt(0)
	ds_read_u8 v1, v37
	s_waitcnt lgkmcnt(0)
	v_and_b32_e32 v3, 1, v1
	v_cmp_eq_u32_e64 s[2:3], 1, v3
	v_cmp_ne_u16_e32 vcc, 0, v1
	s_and_saveexec_b64 s[4:5], s[2:3]
	s_cbranch_execz .LBB3_10
; %bb.38:                               ;   in Loop: Header=BB3_11 Depth=1
	v_and_b32_e32 v3, vcc_lo, v6
	v_and_b32_e32 v1, vcc_hi, v7
	v_bcnt_u32_b32 v3, v3, 0
	v_bcnt_u32_b32 v1, v1, v3
	v_add3_u32 v8, v28, v1, -1
	v_ashrrev_i32_e32 v9, 31, v8
	v_lshlrev_b64 v[10:11], 2, v[8:9]
	v_mov_b32_e32 v1, s25
	v_add_co_u32_e64 v10, s[2:3], s24, v10
	v_add_u32_e32 v3, v30, v40
	v_addc_co_u32_e64 v11, s[2:3], v1, v11, s[2:3]
	global_store_dword v[10:11], v3, off
	ds_read2_b32 v[10:11], v29 offset1:4
	v_lshl_add_u32 v4, v8, 3, v8
	v_lshlrev_b64 v[8:9], 2, v[4:5]
	v_mov_b32_e32 v1, s27
	v_add_co_u32_e64 v8, s[2:3], s26, v8
	v_addc_co_u32_e64 v9, s[2:3], v1, v9, s[2:3]
	s_waitcnt lgkmcnt(0)
	global_store_dword v[8:9], v10, off
	v_add_u32_e32 v8, 1, v4
	v_mov_b32_e32 v9, v5
	v_lshlrev_b64 v[8:9], 2, v[8:9]
	v_add_co_u32_e64 v8, s[2:3], s26, v8
	v_add_u32_e32 v12, 2, v4
	v_mov_b32_e32 v13, v5
	v_addc_co_u32_e64 v9, s[2:3], v1, v9, s[2:3]
	v_lshlrev_b64 v[12:13], 2, v[12:13]
	v_add_co_u32_e64 v12, s[2:3], s26, v12
	v_add_u32_e32 v14, 3, v4
	v_mov_b32_e32 v15, v5
	v_addc_co_u32_e64 v13, s[2:3], v1, v13, s[2:3]
	;; [unrolled: 5-line block ×6, first 2 shown]
	v_lshlrev_b64 v[22:23], 2, v[22:23]
	v_add_co_u32_e64 v22, s[2:3], s26, v22
	v_add_u32_e32 v4, 8, v4
	v_addc_co_u32_e64 v23, s[2:3], v1, v23, s[2:3]
	v_lshlrev_b64 v[40:41], 2, v[4:5]
	v_add_co_u32_e64 v40, s[2:3], s26, v40
	v_addc_co_u32_e64 v41, s[2:3], v1, v41, s[2:3]
	v_add_u32_e32 v1, s15, v29
	v_add_u32_e32 v3, s33, v29
	;; [unrolled: 1-line block ×6, first 2 shown]
	ds_read_b32 v1, v1
	ds_read_b32 v3, v3
	;; [unrolled: 1-line block ×6, first 2 shown]
	ds_read_b32 v44, v29 offset:32
	s_waitcnt lgkmcnt(6)
	global_store_dword v[8:9], v1, off
	s_waitcnt lgkmcnt(5)
	global_store_dword v[12:13], v3, off
	;; [unrolled: 2-line block ×3, first 2 shown]
	global_store_dword v[16:17], v11, off
	s_waitcnt lgkmcnt(3)
	global_store_dword v[18:19], v10, off
	s_waitcnt lgkmcnt(2)
	global_store_dword v[20:21], v42, off
	s_waitcnt lgkmcnt(1)
	global_store_dword v[22:23], v43, off
	s_waitcnt lgkmcnt(0)
	global_store_dword v[40:41], v44, off
	s_branch .LBB3_10
.LBB3_39:
	s_endpgm
	.section	.rodata,"a",@progbits
	.p2align	6, 0x0
	.amdhsa_kernel _ZN9rocsparseL39bsrgeam_wf_per_row_multipass_2_3_kernelILj256ELj3ELj64EfEEv20rocsparse_direction_iiiNS_24const_host_device_scalarIT2_EEPKiS6_PKS3_S4_S6_S6_S8_S6_PiPS3_21rocsparse_index_base_SB_SB_b
		.amdhsa_group_segment_fixed_size 9472
		.amdhsa_private_segment_fixed_size 0
		.amdhsa_kernarg_size 120
		.amdhsa_user_sgpr_count 6
		.amdhsa_user_sgpr_private_segment_buffer 1
		.amdhsa_user_sgpr_dispatch_ptr 0
		.amdhsa_user_sgpr_queue_ptr 0
		.amdhsa_user_sgpr_kernarg_segment_ptr 1
		.amdhsa_user_sgpr_dispatch_id 0
		.amdhsa_user_sgpr_flat_scratch_init 0
		.amdhsa_user_sgpr_kernarg_preload_length 0
		.amdhsa_user_sgpr_kernarg_preload_offset 0
		.amdhsa_user_sgpr_private_segment_size 0
		.amdhsa_uses_dynamic_stack 0
		.amdhsa_system_sgpr_private_segment_wavefront_offset 0
		.amdhsa_system_sgpr_workgroup_id_x 1
		.amdhsa_system_sgpr_workgroup_id_y 0
		.amdhsa_system_sgpr_workgroup_id_z 0
		.amdhsa_system_sgpr_workgroup_info 0
		.amdhsa_system_vgpr_workitem_id 0
		.amdhsa_next_free_vgpr 64
		.amdhsa_next_free_sgpr 40
		.amdhsa_accum_offset 64
		.amdhsa_reserve_vcc 1
		.amdhsa_reserve_flat_scratch 0
		.amdhsa_float_round_mode_32 0
		.amdhsa_float_round_mode_16_64 0
		.amdhsa_float_denorm_mode_32 3
		.amdhsa_float_denorm_mode_16_64 3
		.amdhsa_dx10_clamp 1
		.amdhsa_ieee_mode 1
		.amdhsa_fp16_overflow 0
		.amdhsa_tg_split 0
		.amdhsa_exception_fp_ieee_invalid_op 0
		.amdhsa_exception_fp_denorm_src 0
		.amdhsa_exception_fp_ieee_div_zero 0
		.amdhsa_exception_fp_ieee_overflow 0
		.amdhsa_exception_fp_ieee_underflow 0
		.amdhsa_exception_fp_ieee_inexact 0
		.amdhsa_exception_int_div_zero 0
	.end_amdhsa_kernel
	.section	.text._ZN9rocsparseL39bsrgeam_wf_per_row_multipass_2_3_kernelILj256ELj3ELj64EfEEv20rocsparse_direction_iiiNS_24const_host_device_scalarIT2_EEPKiS6_PKS3_S4_S6_S6_S8_S6_PiPS3_21rocsparse_index_base_SB_SB_b,"axG",@progbits,_ZN9rocsparseL39bsrgeam_wf_per_row_multipass_2_3_kernelILj256ELj3ELj64EfEEv20rocsparse_direction_iiiNS_24const_host_device_scalarIT2_EEPKiS6_PKS3_S4_S6_S6_S8_S6_PiPS3_21rocsparse_index_base_SB_SB_b,comdat
.Lfunc_end3:
	.size	_ZN9rocsparseL39bsrgeam_wf_per_row_multipass_2_3_kernelILj256ELj3ELj64EfEEv20rocsparse_direction_iiiNS_24const_host_device_scalarIT2_EEPKiS6_PKS3_S4_S6_S6_S8_S6_PiPS3_21rocsparse_index_base_SB_SB_b, .Lfunc_end3-_ZN9rocsparseL39bsrgeam_wf_per_row_multipass_2_3_kernelILj256ELj3ELj64EfEEv20rocsparse_direction_iiiNS_24const_host_device_scalarIT2_EEPKiS6_PKS3_S4_S6_S6_S8_S6_PiPS3_21rocsparse_index_base_SB_SB_b
                                        ; -- End function
	.section	.AMDGPU.csdata,"",@progbits
; Kernel info:
; codeLenInByte = 3256
; NumSgprs: 44
; NumVgprs: 64
; NumAgprs: 0
; TotalNumVgprs: 64
; ScratchSize: 0
; MemoryBound: 0
; FloatMode: 240
; IeeeMode: 1
; LDSByteSize: 9472 bytes/workgroup (compile time only)
; SGPRBlocks: 5
; VGPRBlocks: 7
; NumSGPRsForWavesPerEU: 44
; NumVGPRsForWavesPerEU: 64
; AccumOffset: 64
; Occupancy: 6
; WaveLimiterHint : 1
; COMPUTE_PGM_RSRC2:SCRATCH_EN: 0
; COMPUTE_PGM_RSRC2:USER_SGPR: 6
; COMPUTE_PGM_RSRC2:TRAP_HANDLER: 0
; COMPUTE_PGM_RSRC2:TGID_X_EN: 1
; COMPUTE_PGM_RSRC2:TGID_Y_EN: 0
; COMPUTE_PGM_RSRC2:TGID_Z_EN: 0
; COMPUTE_PGM_RSRC2:TIDIG_COMP_CNT: 0
; COMPUTE_PGM_RSRC3_GFX90A:ACCUM_OFFSET: 15
; COMPUTE_PGM_RSRC3_GFX90A:TG_SPLIT: 0
	.section	.text._ZN9rocsparseL35bsrgeam_wf_per_row_multipass_kernelILj64ELj4EfEEv20rocsparse_direction_iiiNS_24const_host_device_scalarIT1_EEPKiS6_PKS3_S4_S6_S6_S8_S6_PiPS3_21rocsparse_index_base_SB_SB_b,"axG",@progbits,_ZN9rocsparseL35bsrgeam_wf_per_row_multipass_kernelILj64ELj4EfEEv20rocsparse_direction_iiiNS_24const_host_device_scalarIT1_EEPKiS6_PKS3_S4_S6_S6_S8_S6_PiPS3_21rocsparse_index_base_SB_SB_b,comdat
	.globl	_ZN9rocsparseL35bsrgeam_wf_per_row_multipass_kernelILj64ELj4EfEEv20rocsparse_direction_iiiNS_24const_host_device_scalarIT1_EEPKiS6_PKS3_S4_S6_S6_S8_S6_PiPS3_21rocsparse_index_base_SB_SB_b ; -- Begin function _ZN9rocsparseL35bsrgeam_wf_per_row_multipass_kernelILj64ELj4EfEEv20rocsparse_direction_iiiNS_24const_host_device_scalarIT1_EEPKiS6_PKS3_S4_S6_S6_S8_S6_PiPS3_21rocsparse_index_base_SB_SB_b
	.p2align	8
	.type	_ZN9rocsparseL35bsrgeam_wf_per_row_multipass_kernelILj64ELj4EfEEv20rocsparse_direction_iiiNS_24const_host_device_scalarIT1_EEPKiS6_PKS3_S4_S6_S6_S8_S6_PiPS3_21rocsparse_index_base_SB_SB_b,@function
_ZN9rocsparseL35bsrgeam_wf_per_row_multipass_kernelILj64ELj4EfEEv20rocsparse_direction_iiiNS_24const_host_device_scalarIT1_EEPKiS6_PKS3_S4_S6_S6_S8_S6_PiPS3_21rocsparse_index_base_SB_SB_b: ; @_ZN9rocsparseL35bsrgeam_wf_per_row_multipass_kernelILj64ELj4EfEEv20rocsparse_direction_iiiNS_24const_host_device_scalarIT1_EEPKiS6_PKS3_S4_S6_S6_S8_S6_PiPS3_21rocsparse_index_base_SB_SB_b
; %bb.0:
	s_load_dwordx4 s[8:11], s[4:5], 0x68
	s_load_dwordx2 s[20:21], s[4:5], 0x10
	s_load_dwordx2 s[22:23], s[4:5], 0x30
	s_waitcnt lgkmcnt(0)
	s_bitcmp1_b32 s11, 0
	s_cselect_b64 s[2:3], -1, 0
	s_xor_b64 s[0:1], s[2:3], -1
	s_and_b64 vcc, exec, s[2:3]
	s_cbranch_vccnz .LBB4_2
; %bb.1:
	s_load_dword s20, s[20:21], 0x0
.LBB4_2:
	s_nop 0
	s_load_dwordx2 s[16:17], s[4:5], 0x18
	s_andn2_b64 vcc, exec, s[0:1]
	s_cbranch_vccnz .LBB4_4
; %bb.3:
	s_load_dword s22, s[22:23], 0x0
.LBB4_4:
	s_nop 0
	s_load_dwordx4 s[12:15], s[4:5], 0x0
	v_lshrrev_b32_e32 v12, 4, v0
	v_lshl_or_b32 v8, s6, 2, v12
	v_mov_b32_e32 v1, 0
	v_ashrrev_i32_e32 v9, 31, v8
	s_waitcnt lgkmcnt(0)
	v_cmp_le_i32_e32 vcc, s13, v8
	v_cmp_gt_i32_e64 s[0:1], s13, v8
	v_mov_b32_e32 v2, 0
	s_and_saveexec_b64 s[6:7], s[0:1]
	s_cbranch_execz .LBB4_6
; %bb.5:
	v_lshlrev_b64 v[2:3], 2, v[8:9]
	v_mov_b32_e32 v4, s17
	v_add_co_u32_e64 v2, s[2:3], s16, v2
	v_addc_co_u32_e64 v3, s[2:3], v4, v3, s[2:3]
	global_load_dword v2, v[2:3], off
	s_waitcnt vmcnt(0)
	v_subrev_u32_e32 v2, s8, v2
.LBB4_6:
	s_or_b64 exec, exec, s[6:7]
	s_load_dwordx2 s[6:7], s[4:5], 0x38
	s_and_saveexec_b64 s[18:19], s[0:1]
	s_cbranch_execz .LBB4_8
; %bb.7:
	v_lshlrev_b64 v[4:5], 2, v[8:9]
	v_mov_b32_e32 v1, s17
	v_add_co_u32_e64 v4, s[2:3], s16, v4
	v_addc_co_u32_e64 v5, s[2:3], v1, v5, s[2:3]
	global_load_dword v1, v[4:5], off offset:4
	s_waitcnt vmcnt(0)
	v_subrev_u32_e32 v1, s8, v1
.LBB4_8:
	s_or_b64 exec, exec, s[18:19]
	v_mov_b32_e32 v11, 0
	v_mov_b32_e32 v4, 0
	s_and_saveexec_b64 s[16:17], s[0:1]
	s_cbranch_execz .LBB4_10
; %bb.9:
	v_lshlrev_b64 v[4:5], 2, v[8:9]
	s_waitcnt lgkmcnt(0)
	v_mov_b32_e32 v3, s7
	v_add_co_u32_e64 v4, s[2:3], s6, v4
	v_addc_co_u32_e64 v5, s[2:3], v3, v5, s[2:3]
	global_load_dword v3, v[4:5], off
	s_waitcnt vmcnt(0)
	v_subrev_u32_e32 v4, s9, v3
.LBB4_10:
	s_or_b64 exec, exec, s[16:17]
	s_and_saveexec_b64 s[16:17], s[0:1]
	s_cbranch_execz .LBB4_12
; %bb.11:
	v_lshlrev_b64 v[6:7], 2, v[8:9]
	s_waitcnt lgkmcnt(0)
	v_mov_b32_e32 v3, s7
	v_add_co_u32_e64 v6, s[2:3], s6, v6
	v_addc_co_u32_e64 v7, s[2:3], v3, v7, s[2:3]
	global_load_dword v3, v[6:7], off offset:4
	s_waitcnt vmcnt(0)
	v_subrev_u32_e32 v11, s9, v3
.LBB4_12:
	s_or_b64 exec, exec, s[16:17]
	s_load_dwordx2 s[24:25], s[4:5], 0x20
	v_mov_b32_e32 v6, 0
	s_and_saveexec_b64 s[2:3], s[0:1]
	s_cbranch_execz .LBB4_14
; %bb.13:
	s_load_dwordx2 s[0:1], s[4:5], 0x50
	v_lshlrev_b64 v[6:7], 2, v[8:9]
	s_waitcnt lgkmcnt(0)
	v_mov_b32_e32 v3, s1
	v_add_co_u32_e64 v6, s[0:1], s0, v6
	v_addc_co_u32_e64 v7, s[0:1], v3, v7, s[0:1]
	global_load_dword v3, v[6:7], off
	s_waitcnt vmcnt(0)
	v_subrev_u32_e32 v6, s10, v3
.LBB4_14:
	s_or_b64 exec, exec, s[2:3]
	s_load_dwordx2 s[26:27], s[4:5], 0x40
	v_cmp_lt_i32_e64 s[0:1], v2, v1
	v_mov_b32_e32 v3, s14
	s_and_saveexec_b64 s[2:3], s[0:1]
	s_cbranch_execz .LBB4_16
; %bb.15:
	v_ashrrev_i32_e32 v3, 31, v2
	v_lshlrev_b64 v[8:9], 2, v[2:3]
	s_waitcnt lgkmcnt(0)
	v_mov_b32_e32 v3, s25
	v_add_co_u32_e64 v8, s[0:1], s24, v8
	v_addc_co_u32_e64 v9, s[0:1], v3, v9, s[0:1]
	global_load_dword v3, v[8:9], off
	s_waitcnt vmcnt(0)
	v_subrev_u32_e32 v3, s8, v3
.LBB4_16:
	s_or_b64 exec, exec, s[2:3]
	v_cmp_lt_i32_e64 s[0:1], v4, v11
	v_mov_b32_e32 v5, s14
	s_and_saveexec_b64 s[2:3], s[0:1]
	s_cbranch_execz .LBB4_18
; %bb.17:
	v_ashrrev_i32_e32 v5, 31, v4
	v_lshlrev_b64 v[8:9], 2, v[4:5]
	s_waitcnt lgkmcnt(0)
	v_mov_b32_e32 v5, s27
	v_add_co_u32_e64 v8, s[0:1], s26, v8
	v_addc_co_u32_e64 v9, s[0:1], v5, v9, s[0:1]
	global_load_dword v5, v[8:9], off
	s_waitcnt vmcnt(0)
	v_subrev_u32_e32 v5, s9, v5
.LBB4_18:
	s_or_b64 exec, exec, s[2:3]
	v_cndmask_b32_e64 v8, 0, 1, vcc
	v_lshlrev_b32_e32 v7, 2, v12
	v_mov_b32_e32 v9, 0
	ds_write_b32 v7, v8 offset:256
	s_waitcnt lgkmcnt(0)
	; wave barrier
	s_waitcnt lgkmcnt(0)
	ds_read_b32 v8, v9 offset:256
	s_waitcnt lgkmcnt(0)
	v_cmp_lt_u32_e32 vcc, 3, v8
	s_cbranch_vccnz .LBB4_58
; %bb.19:
	v_or_b32_e32 v13, 0x100, v7
	v_and_b32_e32 v8, 3, v0
	v_bfe_u32 v10, v0, 2, 2
	v_min_i32_e32 v7, v5, v3
	v_mov_b32_e32 v3, 0x110
	v_lshl_or_b32 v20, v12, 2, v3
	v_max_i32_e32 v3, v10, v8
	s_load_dwordx4 s[16:19], s[4:5], 0x58
	s_load_dwordx2 s[28:29], s[4:5], 0x28
	s_load_dwordx2 s[30:31], s[4:5], 0x48
	v_cmp_gt_i32_e64 s[0:1], s15, v3
	v_and_b32_e32 v3, 48, v0
	v_lshlrev_b32_e32 v5, 2, v10
	v_or3_b32 v5, v5, v3, v8
	v_lshlrev_b32_e32 v22, 2, v5
	v_lshlrev_b32_e32 v5, 2, v8
	s_cmp_eq_u32 s12, 0
	v_or3_b32 v3, v5, v3, v10
	v_lshlrev_b32_e32 v21, 2, v0
	v_lshlrev_b32_e32 v23, 2, v3
	s_cselect_b64 vcc, -1, 0
	s_cmp_lg_u32 s12, 0
	s_cselect_b64 s[12:13], -1, 0
	v_cmp_gt_u32_e64 s[2:3], 2, v0
	v_or_b32_e32 v24, 0x100, v21
	v_cmp_eq_u32_e64 s[4:5], 0, v0
	v_cndmask_b32_e32 v25, v22, v23, vcc
	v_cndmask_b32_e32 v0, v10, v8, vcc
	;; [unrolled: 1-line block ×3, first 2 shown]
	s_mul_i32 s11, s15, s15
	v_mov_b32_e32 v26, 1
	s_branch .LBB4_21
.LBB4_20:                               ;   in Loop: Header=BB4_21 Depth=1
	s_or_b64 exec, exec, s[6:7]
	s_waitcnt lgkmcnt(0)
	; wave barrier
	s_waitcnt lgkmcnt(0)
	ds_read_b32 v5, v9 offset:256
	v_add_u32_e32 v6, 1, v6
	v_mov_b32_e32 v7, v3
	s_waitcnt lgkmcnt(0)
	v_cmp_gt_u32_e32 vcc, 4, v5
	s_cbranch_vccz .LBB4_58
.LBB4_21:                               ; =>This Loop Header: Depth=1
                                        ;     Child Loop BB4_24 Depth 2
                                        ;     Child Loop BB4_39 Depth 2
	v_cmp_lt_i32_e32 vcc, v2, v1
	v_mov_b32_e32 v3, s14
	ds_write_b32 v20, v9
	ds_write_b32 v21, v9
	s_waitcnt lgkmcnt(0)
	; wave barrier
	s_waitcnt lgkmcnt(0)
	s_and_saveexec_b64 s[34:35], vcc
	s_cbranch_execz .LBB4_36
; %bb.22:                               ;   in Loop: Header=BB4_21 Depth=1
	v_mul_lo_u32 v3, s15, v2
	v_add_u32_e32 v5, v8, v3
	v_add_u32_e32 v3, v10, v3
	v_mad_u64_u32 v[16:17], s[6:7], s15, v3, v[8:9]
	v_ashrrev_i32_e32 v3, 31, v2
	v_lshlrev_b64 v[18:19], 2, v[2:3]
	v_mov_b32_e32 v3, s25
	v_add_co_u32_e32 v18, vcc, s24, v18
	v_mad_u64_u32 v[14:15], s[6:7], s15, v5, v[10:11]
	v_addc_co_u32_e32 v19, vcc, v3, v19, vcc
	s_mov_b32 s21, 0
	s_mov_b64 s[36:37], 0
	v_mov_b32_e32 v3, s14
	s_branch .LBB4_24
.LBB4_23:                               ;   in Loop: Header=BB4_24 Depth=2
	s_or_b64 exec, exec, s[40:41]
	s_and_b64 s[6:7], exec, s[38:39]
	v_mov_b32_e32 v15, v2
	s_or_b64 s[36:37], s[6:7], s[36:37]
	v_mov_b32_e32 v2, v5
	s_andn2_b64 exec, exec, s[36:37]
	s_cbranch_execz .LBB4_35
.LBB4_24:                               ;   Parent Loop BB4_21 Depth=1
                                        ; =>  This Inner Loop Header: Depth=2
	global_load_dword v5, v[18:19], off
	s_waitcnt vmcnt(0)
	v_subrev_u32_e32 v5, s8, v5
	v_cmp_le_i32_e64 s[6:7], v5, v7
	s_and_saveexec_b64 s[38:39], s[6:7]
	s_xor_b64 s[38:39], exec, s[38:39]
	s_cbranch_execz .LBB4_28
; %bb.25:                               ;   in Loop: Header=BB4_24 Depth=2
	ds_write_b32 v20, v26
	s_and_saveexec_b64 s[40:41], s[0:1]
	s_cbranch_execz .LBB4_34
; %bb.26:                               ;   in Loop: Header=BB4_24 Depth=2
	s_and_b64 vcc, exec, s[12:13]
	s_cbranch_vccz .LBB4_32
; %bb.27:                               ;   in Loop: Header=BB4_24 Depth=2
	v_add_u32_e32 v28, s21, v16
	v_ashrrev_i32_e32 v29, 31, v28
	v_lshlrev_b64 v[28:29], 2, v[28:29]
	v_mov_b32_e32 v5, s29
	v_add_co_u32_e32 v28, vcc, s28, v28
	v_addc_co_u32_e32 v29, vcc, v5, v29, vcc
	global_load_dword v5, v[28:29], off
	s_waitcnt vmcnt(0)
	v_mul_f32_e32 v5, s20, v5
	ds_write_b32 v22, v5
	s_cbranch_execz .LBB4_33
	s_branch .LBB4_34
.LBB4_28:                               ;   in Loop: Header=BB4_24 Depth=2
	s_andn2_saveexec_b64 s[38:39], s[38:39]
.LBB4_29:                               ;   in Loop: Header=BB4_24 Depth=2
	v_min_i32_e32 v3, v5, v3
.LBB4_30:                               ;   in Loop: Header=BB4_24 Depth=2
	s_or_b64 exec, exec, s[38:39]
	s_mov_b64 s[38:39], -1
                                        ; implicit-def: $vgpr5
	s_and_saveexec_b64 s[40:41], s[6:7]
	s_cbranch_execz .LBB4_23
; %bb.31:                               ;   in Loop: Header=BB4_24 Depth=2
	v_add_co_u32_e32 v18, vcc, 4, v18
	v_add_u32_e32 v5, 1, v2
	v_addc_co_u32_e32 v19, vcc, 0, v19, vcc
	v_cmp_ge_i32_e32 vcc, v5, v1
	s_add_i32 s21, s21, s11
	s_orn2_b64 s[38:39], vcc, exec
	v_mov_b32_e32 v2, v1
	s_branch .LBB4_23
.LBB4_32:                               ;   in Loop: Header=BB4_24 Depth=2
.LBB4_33:                               ;   in Loop: Header=BB4_24 Depth=2
	v_add_u32_e32 v28, s21, v14
	v_ashrrev_i32_e32 v29, 31, v28
	v_lshlrev_b64 v[28:29], 2, v[28:29]
	v_mov_b32_e32 v5, s29
	v_add_co_u32_e32 v28, vcc, s28, v28
	v_addc_co_u32_e32 v29, vcc, v5, v29, vcc
	global_load_dword v5, v[28:29], off
	s_waitcnt vmcnt(0)
	v_mul_f32_e32 v5, s20, v5
	ds_write_b32 v23, v5
.LBB4_34:                               ;   in Loop: Header=BB4_24 Depth=2
	s_or_b64 exec, exec, s[40:41]
                                        ; implicit-def: $vgpr5
	s_andn2_saveexec_b64 s[38:39], s[38:39]
	s_cbranch_execz .LBB4_30
	s_branch .LBB4_29
.LBB4_35:                               ;   in Loop: Header=BB4_21 Depth=1
	s_or_b64 exec, exec, s[36:37]
	v_mov_b32_e32 v2, v15
.LBB4_36:                               ;   in Loop: Header=BB4_21 Depth=1
	s_or_b64 exec, exec, s[34:35]
	v_cmp_lt_i32_e32 vcc, v4, v11
	s_waitcnt lgkmcnt(0)
	; wave barrier
	s_waitcnt lgkmcnt(0)
	s_and_saveexec_b64 s[34:35], vcc
	s_cbranch_execz .LBB4_51
; %bb.37:                               ;   in Loop: Header=BB4_21 Depth=1
	v_mul_lo_u32 v5, s15, v4
	v_add_u32_e32 v14, v8, v5
	v_add_u32_e32 v5, v10, v5
	v_mad_u64_u32 v[16:17], s[6:7], s15, v5, v[8:9]
	v_ashrrev_i32_e32 v5, 31, v4
	v_lshlrev_b64 v[18:19], 2, v[4:5]
	v_mov_b32_e32 v5, s27
	v_add_co_u32_e32 v18, vcc, s26, v18
	v_mad_u64_u32 v[14:15], s[6:7], s15, v14, v[10:11]
	v_addc_co_u32_e32 v19, vcc, v5, v19, vcc
	s_mov_b32 s21, 0
	s_mov_b64 s[36:37], 0
	s_branch .LBB4_39
.LBB4_38:                               ;   in Loop: Header=BB4_39 Depth=2
	s_or_b64 exec, exec, s[40:41]
	s_and_b64 s[6:7], exec, s[38:39]
	v_mov_b32_e32 v15, v4
	s_or_b64 s[36:37], s[6:7], s[36:37]
	v_mov_b32_e32 v4, v5
	s_andn2_b64 exec, exec, s[36:37]
	s_cbranch_execz .LBB4_50
.LBB4_39:                               ;   Parent Loop BB4_21 Depth=1
                                        ; =>  This Inner Loop Header: Depth=2
	global_load_dword v5, v[18:19], off
	s_waitcnt vmcnt(0)
	v_subrev_u32_e32 v5, s9, v5
	v_cmp_le_i32_e64 s[6:7], v5, v7
	s_and_saveexec_b64 s[38:39], s[6:7]
	s_xor_b64 s[38:39], exec, s[38:39]
	s_cbranch_execz .LBB4_43
; %bb.40:                               ;   in Loop: Header=BB4_39 Depth=2
	ds_write_b32 v20, v26
	s_and_saveexec_b64 s[40:41], s[0:1]
	s_cbranch_execz .LBB4_49
; %bb.41:                               ;   in Loop: Header=BB4_39 Depth=2
	s_and_b64 vcc, exec, s[12:13]
	s_cbranch_vccz .LBB4_47
; %bb.42:                               ;   in Loop: Header=BB4_39 Depth=2
	v_add_u32_e32 v28, s21, v16
	v_ashrrev_i32_e32 v29, 31, v28
	v_lshlrev_b64 v[28:29], 2, v[28:29]
	v_mov_b32_e32 v5, s31
	v_add_co_u32_e32 v28, vcc, s30, v28
	v_addc_co_u32_e32 v29, vcc, v5, v29, vcc
	global_load_dword v5, v[28:29], off
	ds_read_b32 v15, v22
	s_waitcnt vmcnt(0) lgkmcnt(0)
	v_fmac_f32_e32 v15, s22, v5
	ds_write_b32 v22, v15
	s_cbranch_execz .LBB4_48
	s_branch .LBB4_49
.LBB4_43:                               ;   in Loop: Header=BB4_39 Depth=2
	s_andn2_saveexec_b64 s[38:39], s[38:39]
.LBB4_44:                               ;   in Loop: Header=BB4_39 Depth=2
	v_min_i32_e32 v3, v5, v3
.LBB4_45:                               ;   in Loop: Header=BB4_39 Depth=2
	s_or_b64 exec, exec, s[38:39]
	s_mov_b64 s[38:39], -1
                                        ; implicit-def: $vgpr5
	s_and_saveexec_b64 s[40:41], s[6:7]
	s_cbranch_execz .LBB4_38
; %bb.46:                               ;   in Loop: Header=BB4_39 Depth=2
	v_add_co_u32_e32 v18, vcc, 4, v18
	v_add_u32_e32 v5, 1, v4
	v_addc_co_u32_e32 v19, vcc, 0, v19, vcc
	v_cmp_ge_i32_e32 vcc, v5, v11
	s_add_i32 s21, s21, s11
	s_orn2_b64 s[38:39], vcc, exec
	v_mov_b32_e32 v4, v11
	s_branch .LBB4_38
.LBB4_47:                               ;   in Loop: Header=BB4_39 Depth=2
.LBB4_48:                               ;   in Loop: Header=BB4_39 Depth=2
	v_add_u32_e32 v28, s21, v14
	v_ashrrev_i32_e32 v29, 31, v28
	v_lshlrev_b64 v[28:29], 2, v[28:29]
	v_mov_b32_e32 v5, s31
	v_add_co_u32_e32 v28, vcc, s30, v28
	v_addc_co_u32_e32 v29, vcc, v5, v29, vcc
	global_load_dword v5, v[28:29], off
	ds_read_b32 v15, v23
	s_waitcnt vmcnt(0) lgkmcnt(0)
	v_fmac_f32_e32 v15, s22, v5
	ds_write_b32 v23, v15
.LBB4_49:                               ;   in Loop: Header=BB4_39 Depth=2
	s_or_b64 exec, exec, s[40:41]
                                        ; implicit-def: $vgpr5
	s_andn2_saveexec_b64 s[38:39], s[38:39]
	s_cbranch_execz .LBB4_45
	s_branch .LBB4_44
.LBB4_50:                               ;   in Loop: Header=BB4_21 Depth=1
	s_or_b64 exec, exec, s[36:37]
	v_mov_b32_e32 v4, v15
.LBB4_51:                               ;   in Loop: Header=BB4_21 Depth=1
	s_or_b64 exec, exec, s[34:35]
	s_waitcnt lgkmcnt(0)
	; wave barrier
	s_waitcnt lgkmcnt(0)
	ds_read_b32 v5, v20
	s_waitcnt lgkmcnt(0)
	v_cmp_ne_u32_e32 vcc, 0, v5
	s_and_saveexec_b64 s[6:7], vcc
	s_cbranch_execz .LBB4_54
; %bb.52:                               ;   in Loop: Header=BB4_21 Depth=1
	v_add_u32_e32 v5, s10, v7
	v_ashrrev_i32_e32 v7, 31, v6
	v_lshlrev_b64 v[14:15], 2, v[6:7]
	v_mov_b32_e32 v7, s17
	v_add_co_u32_e32 v14, vcc, s16, v14
	v_addc_co_u32_e32 v15, vcc, v7, v15, vcc
	global_store_dword v[14:15], v5, off
	s_and_b64 exec, exec, s[0:1]
	s_cbranch_execz .LBB4_54
; %bb.53:                               ;   in Loop: Header=BB4_21 Depth=1
	v_mad_u64_u32 v[14:15], s[34:35], v6, s15, v[0:1]
	ds_read_b32 v5, v25
	v_mad_u64_u32 v[14:15], s[34:35], v14, s15, v[12:13]
	v_ashrrev_i32_e32 v15, 31, v14
	v_lshlrev_b64 v[14:15], 2, v[14:15]
	v_mov_b32_e32 v7, s19
	v_add_co_u32_e32 v14, vcc, s18, v14
	v_addc_co_u32_e32 v15, vcc, v7, v15, vcc
	s_waitcnt lgkmcnt(0)
	global_store_dword v[14:15], v5, off
.LBB4_54:                               ;   in Loop: Header=BB4_21 Depth=1
	s_or_b64 exec, exec, s[6:7]
	v_cmp_le_i32_e32 vcc, s14, v3
	v_cndmask_b32_e64 v5, 0, 1, vcc
	s_waitcnt lgkmcnt(0)
	; wave barrier
	s_waitcnt lgkmcnt(0)
	s_waitcnt lgkmcnt(0)
	; wave barrier
	ds_write_b32 v13, v5
	s_waitcnt lgkmcnt(0)
	; wave barrier
	s_waitcnt lgkmcnt(0)
	s_and_saveexec_b64 s[6:7], s[2:3]
	s_cbranch_execz .LBB4_56
; %bb.55:                               ;   in Loop: Header=BB4_21 Depth=1
	ds_read2_b32 v[14:15], v24 offset1:2
	s_waitcnt lgkmcnt(0)
	v_add_u32_e32 v5, v15, v14
	ds_write_b32 v24, v5
.LBB4_56:                               ;   in Loop: Header=BB4_21 Depth=1
	s_or_b64 exec, exec, s[6:7]
	s_waitcnt lgkmcnt(0)
	; wave barrier
	s_waitcnt lgkmcnt(0)
	s_and_saveexec_b64 s[6:7], s[4:5]
	s_cbranch_execz .LBB4_20
; %bb.57:                               ;   in Loop: Header=BB4_21 Depth=1
	ds_read_b64 v[14:15], v9 offset:256
	s_waitcnt lgkmcnt(0)
	v_add_u32_e32 v5, v15, v14
	ds_write_b32 v9, v5 offset:256
	s_branch .LBB4_20
.LBB4_58:
	s_endpgm
	.section	.rodata,"a",@progbits
	.p2align	6, 0x0
	.amdhsa_kernel _ZN9rocsparseL35bsrgeam_wf_per_row_multipass_kernelILj64ELj4EfEEv20rocsparse_direction_iiiNS_24const_host_device_scalarIT1_EEPKiS6_PKS3_S4_S6_S6_S8_S6_PiPS3_21rocsparse_index_base_SB_SB_b
		.amdhsa_group_segment_fixed_size 288
		.amdhsa_private_segment_fixed_size 0
		.amdhsa_kernarg_size 120
		.amdhsa_user_sgpr_count 6
		.amdhsa_user_sgpr_private_segment_buffer 1
		.amdhsa_user_sgpr_dispatch_ptr 0
		.amdhsa_user_sgpr_queue_ptr 0
		.amdhsa_user_sgpr_kernarg_segment_ptr 1
		.amdhsa_user_sgpr_dispatch_id 0
		.amdhsa_user_sgpr_flat_scratch_init 0
		.amdhsa_user_sgpr_kernarg_preload_length 0
		.amdhsa_user_sgpr_kernarg_preload_offset 0
		.amdhsa_user_sgpr_private_segment_size 0
		.amdhsa_uses_dynamic_stack 0
		.amdhsa_system_sgpr_private_segment_wavefront_offset 0
		.amdhsa_system_sgpr_workgroup_id_x 1
		.amdhsa_system_sgpr_workgroup_id_y 0
		.amdhsa_system_sgpr_workgroup_id_z 0
		.amdhsa_system_sgpr_workgroup_info 0
		.amdhsa_system_vgpr_workitem_id 0
		.amdhsa_next_free_vgpr 30
		.amdhsa_next_free_sgpr 42
		.amdhsa_accum_offset 32
		.amdhsa_reserve_vcc 1
		.amdhsa_reserve_flat_scratch 0
		.amdhsa_float_round_mode_32 0
		.amdhsa_float_round_mode_16_64 0
		.amdhsa_float_denorm_mode_32 3
		.amdhsa_float_denorm_mode_16_64 3
		.amdhsa_dx10_clamp 1
		.amdhsa_ieee_mode 1
		.amdhsa_fp16_overflow 0
		.amdhsa_tg_split 0
		.amdhsa_exception_fp_ieee_invalid_op 0
		.amdhsa_exception_fp_denorm_src 0
		.amdhsa_exception_fp_ieee_div_zero 0
		.amdhsa_exception_fp_ieee_overflow 0
		.amdhsa_exception_fp_ieee_underflow 0
		.amdhsa_exception_fp_ieee_inexact 0
		.amdhsa_exception_int_div_zero 0
	.end_amdhsa_kernel
	.section	.text._ZN9rocsparseL35bsrgeam_wf_per_row_multipass_kernelILj64ELj4EfEEv20rocsparse_direction_iiiNS_24const_host_device_scalarIT1_EEPKiS6_PKS3_S4_S6_S6_S8_S6_PiPS3_21rocsparse_index_base_SB_SB_b,"axG",@progbits,_ZN9rocsparseL35bsrgeam_wf_per_row_multipass_kernelILj64ELj4EfEEv20rocsparse_direction_iiiNS_24const_host_device_scalarIT1_EEPKiS6_PKS3_S4_S6_S6_S8_S6_PiPS3_21rocsparse_index_base_SB_SB_b,comdat
.Lfunc_end4:
	.size	_ZN9rocsparseL35bsrgeam_wf_per_row_multipass_kernelILj64ELj4EfEEv20rocsparse_direction_iiiNS_24const_host_device_scalarIT1_EEPKiS6_PKS3_S4_S6_S6_S8_S6_PiPS3_21rocsparse_index_base_SB_SB_b, .Lfunc_end4-_ZN9rocsparseL35bsrgeam_wf_per_row_multipass_kernelILj64ELj4EfEEv20rocsparse_direction_iiiNS_24const_host_device_scalarIT1_EEPKiS6_PKS3_S4_S6_S6_S8_S6_PiPS3_21rocsparse_index_base_SB_SB_b
                                        ; -- End function
	.section	.AMDGPU.csdata,"",@progbits
; Kernel info:
; codeLenInByte = 1944
; NumSgprs: 46
; NumVgprs: 30
; NumAgprs: 0
; TotalNumVgprs: 30
; ScratchSize: 0
; MemoryBound: 0
; FloatMode: 240
; IeeeMode: 1
; LDSByteSize: 288 bytes/workgroup (compile time only)
; SGPRBlocks: 5
; VGPRBlocks: 3
; NumSGPRsForWavesPerEU: 46
; NumVGPRsForWavesPerEU: 30
; AccumOffset: 32
; Occupancy: 8
; WaveLimiterHint : 0
; COMPUTE_PGM_RSRC2:SCRATCH_EN: 0
; COMPUTE_PGM_RSRC2:USER_SGPR: 6
; COMPUTE_PGM_RSRC2:TRAP_HANDLER: 0
; COMPUTE_PGM_RSRC2:TGID_X_EN: 1
; COMPUTE_PGM_RSRC2:TGID_Y_EN: 0
; COMPUTE_PGM_RSRC2:TGID_Z_EN: 0
; COMPUTE_PGM_RSRC2:TIDIG_COMP_CNT: 0
; COMPUTE_PGM_RSRC3_GFX90A:ACCUM_OFFSET: 7
; COMPUTE_PGM_RSRC3_GFX90A:TG_SPLIT: 0
	.section	.text._ZN9rocsparseL35bsrgeam_wf_per_row_multipass_kernelILj64ELj8EfEEv20rocsparse_direction_iiiNS_24const_host_device_scalarIT1_EEPKiS6_PKS3_S4_S6_S6_S8_S6_PiPS3_21rocsparse_index_base_SB_SB_b,"axG",@progbits,_ZN9rocsparseL35bsrgeam_wf_per_row_multipass_kernelILj64ELj8EfEEv20rocsparse_direction_iiiNS_24const_host_device_scalarIT1_EEPKiS6_PKS3_S4_S6_S6_S8_S6_PiPS3_21rocsparse_index_base_SB_SB_b,comdat
	.globl	_ZN9rocsparseL35bsrgeam_wf_per_row_multipass_kernelILj64ELj8EfEEv20rocsparse_direction_iiiNS_24const_host_device_scalarIT1_EEPKiS6_PKS3_S4_S6_S6_S8_S6_PiPS3_21rocsparse_index_base_SB_SB_b ; -- Begin function _ZN9rocsparseL35bsrgeam_wf_per_row_multipass_kernelILj64ELj8EfEEv20rocsparse_direction_iiiNS_24const_host_device_scalarIT1_EEPKiS6_PKS3_S4_S6_S6_S8_S6_PiPS3_21rocsparse_index_base_SB_SB_b
	.p2align	8
	.type	_ZN9rocsparseL35bsrgeam_wf_per_row_multipass_kernelILj64ELj8EfEEv20rocsparse_direction_iiiNS_24const_host_device_scalarIT1_EEPKiS6_PKS3_S4_S6_S6_S8_S6_PiPS3_21rocsparse_index_base_SB_SB_b,@function
_ZN9rocsparseL35bsrgeam_wf_per_row_multipass_kernelILj64ELj8EfEEv20rocsparse_direction_iiiNS_24const_host_device_scalarIT1_EEPKiS6_PKS3_S4_S6_S6_S8_S6_PiPS3_21rocsparse_index_base_SB_SB_b: ; @_ZN9rocsparseL35bsrgeam_wf_per_row_multipass_kernelILj64ELj8EfEEv20rocsparse_direction_iiiNS_24const_host_device_scalarIT1_EEPKiS6_PKS3_S4_S6_S6_S8_S6_PiPS3_21rocsparse_index_base_SB_SB_b
; %bb.0:
	s_load_dwordx4 s[8:11], s[4:5], 0x68
	s_load_dwordx2 s[20:21], s[4:5], 0x10
	s_load_dwordx2 s[22:23], s[4:5], 0x30
	s_waitcnt lgkmcnt(0)
	s_bitcmp1_b32 s11, 0
	s_cselect_b64 s[2:3], -1, 0
	s_xor_b64 s[0:1], s[2:3], -1
	s_and_b64 vcc, exec, s[2:3]
	s_cbranch_vccnz .LBB5_2
; %bb.1:
	s_load_dword s20, s[20:21], 0x0
.LBB5_2:
	s_nop 0
	s_load_dwordx2 s[16:17], s[4:5], 0x18
	s_andn2_b64 vcc, exec, s[0:1]
	s_cbranch_vccnz .LBB5_4
; %bb.3:
	s_load_dword s22, s[22:23], 0x0
.LBB5_4:
	s_nop 0
	s_load_dwordx4 s[12:15], s[4:5], 0x0
	v_mov_b32_e32 v8, s6
	v_mov_b32_e32 v1, 0
	;; [unrolled: 1-line block ×3, first 2 shown]
	s_waitcnt lgkmcnt(0)
	s_cmp_ge_i32 s6, s13
	s_cselect_b64 s[0:1], -1, 0
	s_cmp_lt_i32 s6, s13
	s_cselect_b64 s[2:3], -1, 0
	s_and_saveexec_b64 s[18:19], s[2:3]
	s_cbranch_execz .LBB5_6
; %bb.5:
	v_ashrrev_i32_e64 v9, 31, s6
	v_lshlrev_b64 v[2:3], 2, v[8:9]
	v_mov_b32_e32 v4, s17
	v_add_co_u32_e32 v2, vcc, s16, v2
	v_addc_co_u32_e32 v3, vcc, v4, v3, vcc
	global_load_dword v2, v[2:3], off
	s_waitcnt vmcnt(0)
	v_subrev_u32_e32 v2, s8, v2
.LBB5_6:
	s_or_b64 exec, exec, s[18:19]
	s_load_dwordx2 s[18:19], s[4:5], 0x38
	s_and_saveexec_b64 s[24:25], s[2:3]
	s_cbranch_execz .LBB5_8
; %bb.7:
	v_ashrrev_i32_e64 v9, 31, s6
	v_lshlrev_b64 v[4:5], 2, v[8:9]
	v_mov_b32_e32 v1, s17
	v_add_co_u32_e32 v4, vcc, s16, v4
	v_addc_co_u32_e32 v5, vcc, v1, v5, vcc
	global_load_dword v1, v[4:5], off offset:4
	s_waitcnt vmcnt(0)
	v_subrev_u32_e32 v1, s8, v1
.LBB5_8:
	s_or_b64 exec, exec, s[24:25]
	v_mov_b32_e32 v11, 0
	v_mov_b32_e32 v4, 0
	s_and_saveexec_b64 s[16:17], s[2:3]
	s_cbranch_execz .LBB5_10
; %bb.9:
	v_ashrrev_i32_e64 v9, 31, s6
	v_lshlrev_b64 v[4:5], 2, v[8:9]
	s_waitcnt lgkmcnt(0)
	v_mov_b32_e32 v3, s19
	v_add_co_u32_e32 v4, vcc, s18, v4
	v_addc_co_u32_e32 v5, vcc, v3, v5, vcc
	global_load_dword v3, v[4:5], off
	s_waitcnt vmcnt(0)
	v_subrev_u32_e32 v4, s9, v3
.LBB5_10:
	s_or_b64 exec, exec, s[16:17]
	s_and_saveexec_b64 s[16:17], s[2:3]
	s_cbranch_execz .LBB5_12
; %bb.11:
	v_ashrrev_i32_e64 v9, 31, s6
	v_lshlrev_b64 v[6:7], 2, v[8:9]
	s_waitcnt lgkmcnt(0)
	v_mov_b32_e32 v3, s19
	v_add_co_u32_e32 v6, vcc, s18, v6
	v_addc_co_u32_e32 v7, vcc, v3, v7, vcc
	global_load_dword v3, v[6:7], off offset:4
	s_waitcnt vmcnt(0)
	v_subrev_u32_e32 v11, s9, v3
.LBB5_12:
	s_or_b64 exec, exec, s[16:17]
	s_load_dwordx2 s[24:25], s[4:5], 0x20
	v_mov_b32_e32 v6, 0
	s_and_saveexec_b64 s[16:17], s[2:3]
	s_cbranch_execz .LBB5_14
; %bb.13:
	s_load_dwordx2 s[2:3], s[4:5], 0x50
	v_ashrrev_i32_e64 v9, 31, s6
	v_lshlrev_b64 v[6:7], 2, v[8:9]
	s_waitcnt lgkmcnt(0)
	v_mov_b32_e32 v3, s3
	v_add_co_u32_e32 v6, vcc, s2, v6
	v_addc_co_u32_e32 v7, vcc, v3, v7, vcc
	global_load_dword v3, v[6:7], off
	s_waitcnt vmcnt(0)
	v_subrev_u32_e32 v6, s10, v3
.LBB5_14:
	s_or_b64 exec, exec, s[16:17]
	s_load_dwordx2 s[6:7], s[4:5], 0x40
	v_cmp_lt_i32_e32 vcc, v2, v1
	v_mov_b32_e32 v3, s14
	s_and_saveexec_b64 s[2:3], vcc
	s_cbranch_execz .LBB5_16
; %bb.15:
	v_ashrrev_i32_e32 v3, 31, v2
	v_lshlrev_b64 v[8:9], 2, v[2:3]
	s_waitcnt lgkmcnt(0)
	v_mov_b32_e32 v3, s25
	v_add_co_u32_e32 v8, vcc, s24, v8
	v_addc_co_u32_e32 v9, vcc, v3, v9, vcc
	global_load_dword v3, v[8:9], off
	s_waitcnt vmcnt(0)
	v_subrev_u32_e32 v3, s8, v3
.LBB5_16:
	s_or_b64 exec, exec, s[2:3]
	v_cmp_lt_i32_e32 vcc, v4, v11
	v_mov_b32_e32 v5, s14
	s_and_saveexec_b64 s[2:3], vcc
	s_cbranch_execz .LBB5_18
; %bb.17:
	v_ashrrev_i32_e32 v5, 31, v4
	v_lshlrev_b64 v[8:9], 2, v[4:5]
	s_waitcnt lgkmcnt(0)
	v_mov_b32_e32 v5, s7
	v_add_co_u32_e32 v8, vcc, s6, v8
	v_addc_co_u32_e32 v9, vcc, v5, v9, vcc
	global_load_dword v5, v[8:9], off
	s_waitcnt vmcnt(0)
	v_subrev_u32_e32 v5, s9, v5
.LBB5_18:
	s_or_b64 exec, exec, s[2:3]
	v_cndmask_b32_e64 v7, 0, 1, s[0:1]
	v_mov_b32_e32 v9, 0
	ds_write_b32 v9, v7 offset:256
	s_waitcnt lgkmcnt(0)
	; wave barrier
	s_waitcnt lgkmcnt(0)
	ds_read_b32 v7, v9 offset:256
	s_waitcnt lgkmcnt(0)
	v_cmp_ne_u32_e32 vcc, 0, v7
	s_cbranch_vccz .LBB5_20
.LBB5_19:
	s_endpgm
.LBB5_20:
	s_load_dwordx4 s[16:19], s[4:5], 0x58
	s_load_dwordx2 s[26:27], s[4:5], 0x28
	s_load_dwordx2 s[28:29], s[4:5], 0x48
	v_and_b32_e32 v8, 7, v0
	v_lshrrev_b32_e32 v10, 3, v0
	v_lshlrev_b32_e32 v21, 2, v0
	v_max_i32_e32 v0, v10, v8
	v_cmp_gt_i32_e64 s[0:1], s15, v0
	v_lshlrev_b32_e32 v0, 2, v8
	s_cmp_eq_u32 s12, 0
	v_lshl_or_b32 v22, v10, 5, v0
	v_lshlrev_b32_e32 v0, 2, v10
	v_lshl_or_b32 v23, v8, 5, v0
	s_cselect_b64 vcc, -1, 0
	s_cmp_lg_u32 s12, 0
	v_mov_b32_e32 v13, 0x100
	v_min_i32_e32 v3, v5, v3
	v_mov_b32_e32 v20, 0x104
	s_cselect_b64 s[4:5], -1, 0
	v_cndmask_b32_e32 v24, v22, v23, vcc
	v_cndmask_b32_e32 v0, v10, v8, vcc
	v_cndmask_b32_e32 v12, v8, v10, vcc
	s_mul_i32 s11, s15, s15
	v_mov_b32_e32 v25, 1
	s_branch .LBB5_22
.LBB5_21:                               ;   in Loop: Header=BB5_22 Depth=1
	s_or_b64 exec, exec, s[2:3]
	v_cmp_le_i32_e32 vcc, s14, v3
	v_cndmask_b32_e64 v5, 0, 1, vcc
	s_waitcnt lgkmcnt(0)
	; wave barrier
	s_waitcnt lgkmcnt(0)
	s_waitcnt lgkmcnt(0)
	; wave barrier
	ds_write_b32 v13, v5
	s_waitcnt lgkmcnt(0)
	; wave barrier
	s_waitcnt lgkmcnt(0)
	ds_read_b32 v5, v9 offset:256
	v_add_u32_e32 v6, 1, v6
	s_waitcnt lgkmcnt(0)
	v_cmp_eq_u32_e32 vcc, 0, v5
	s_cbranch_vccz .LBB5_19
.LBB5_22:                               ; =>This Loop Header: Depth=1
                                        ;     Child Loop BB5_25 Depth 2
                                        ;     Child Loop BB5_40 Depth 2
	v_mov_b32_e32 v7, v3
	v_cmp_lt_i32_e32 vcc, v2, v1
	v_mov_b32_e32 v3, s14
	ds_write_b32 v20, v9
	ds_write_b32 v21, v9
	s_waitcnt lgkmcnt(0)
	; wave barrier
	s_waitcnt lgkmcnt(0)
	s_and_saveexec_b64 s[12:13], vcc
	s_cbranch_execz .LBB5_37
; %bb.23:                               ;   in Loop: Header=BB5_22 Depth=1
	v_mul_lo_u32 v3, s15, v2
	v_add_u32_e32 v5, v8, v3
	v_add_u32_e32 v3, v10, v3
	v_mad_u64_u32 v[16:17], s[2:3], s15, v3, v[8:9]
	v_ashrrev_i32_e32 v3, 31, v2
	v_lshlrev_b64 v[18:19], 2, v[2:3]
	v_mov_b32_e32 v3, s25
	v_add_co_u32_e32 v18, vcc, s24, v18
	v_mad_u64_u32 v[14:15], s[2:3], s15, v5, v[10:11]
	v_addc_co_u32_e32 v19, vcc, v3, v19, vcc
	s_mov_b32 s21, 0
	s_mov_b64 s[30:31], 0
	v_mov_b32_e32 v3, s14
	s_branch .LBB5_25
.LBB5_24:                               ;   in Loop: Header=BB5_25 Depth=2
	s_or_b64 exec, exec, s[36:37]
	s_and_b64 s[2:3], exec, s[34:35]
	v_mov_b32_e32 v15, v2
	s_or_b64 s[30:31], s[2:3], s[30:31]
	v_mov_b32_e32 v2, v5
	s_andn2_b64 exec, exec, s[30:31]
	s_cbranch_execz .LBB5_36
.LBB5_25:                               ;   Parent Loop BB5_22 Depth=1
                                        ; =>  This Inner Loop Header: Depth=2
	global_load_dword v5, v[18:19], off
	s_waitcnt vmcnt(0)
	v_subrev_u32_e32 v5, s8, v5
	v_cmp_le_i32_e64 s[2:3], v5, v7
	s_and_saveexec_b64 s[34:35], s[2:3]
	s_xor_b64 s[34:35], exec, s[34:35]
	s_cbranch_execz .LBB5_31
; %bb.26:                               ;   in Loop: Header=BB5_25 Depth=2
	ds_write_b32 v20, v25
	s_and_saveexec_b64 s[36:37], s[0:1]
	s_cbranch_execz .LBB5_30
; %bb.27:                               ;   in Loop: Header=BB5_25 Depth=2
	s_and_b64 vcc, exec, s[4:5]
	s_cbranch_vccz .LBB5_35
; %bb.28:                               ;   in Loop: Header=BB5_25 Depth=2
	v_add_u32_e32 v26, s21, v16
	v_ashrrev_i32_e32 v27, 31, v26
	v_lshlrev_b64 v[26:27], 2, v[26:27]
	v_mov_b32_e32 v5, s27
	v_add_co_u32_e32 v26, vcc, s26, v26
	v_addc_co_u32_e32 v27, vcc, v5, v27, vcc
	global_load_dword v5, v[26:27], off
	s_waitcnt vmcnt(0)
	v_mul_f32_e32 v5, s20, v5
	ds_write_b32 v22, v5
	s_cbranch_execnz .LBB5_30
.LBB5_29:                               ;   in Loop: Header=BB5_25 Depth=2
	v_add_u32_e32 v26, s21, v14
	v_ashrrev_i32_e32 v27, 31, v26
	v_lshlrev_b64 v[26:27], 2, v[26:27]
	v_mov_b32_e32 v5, s27
	v_add_co_u32_e32 v26, vcc, s26, v26
	v_addc_co_u32_e32 v27, vcc, v5, v27, vcc
	global_load_dword v5, v[26:27], off
	s_waitcnt vmcnt(0)
	v_mul_f32_e32 v5, s20, v5
	ds_write_b32 v23, v5
.LBB5_30:                               ;   in Loop: Header=BB5_25 Depth=2
	s_or_b64 exec, exec, s[36:37]
                                        ; implicit-def: $vgpr5
	s_andn2_saveexec_b64 s[34:35], s[34:35]
	s_branch .LBB5_32
.LBB5_31:                               ;   in Loop: Header=BB5_25 Depth=2
	s_andn2_saveexec_b64 s[34:35], s[34:35]
.LBB5_32:                               ;   in Loop: Header=BB5_25 Depth=2
	v_min_i32_e32 v3, v5, v3
; %bb.33:                               ;   in Loop: Header=BB5_25 Depth=2
	s_or_b64 exec, exec, s[34:35]
	s_mov_b64 s[34:35], -1
                                        ; implicit-def: $vgpr5
	s_and_saveexec_b64 s[36:37], s[2:3]
	s_cbranch_execz .LBB5_24
; %bb.34:                               ;   in Loop: Header=BB5_25 Depth=2
	v_add_co_u32_e32 v18, vcc, 4, v18
	v_add_u32_e32 v5, 1, v2
	v_addc_co_u32_e32 v19, vcc, 0, v19, vcc
	v_cmp_ge_i32_e32 vcc, v5, v1
	s_add_i32 s21, s21, s11
	s_orn2_b64 s[34:35], vcc, exec
	v_mov_b32_e32 v2, v1
	s_branch .LBB5_24
.LBB5_35:                               ;   in Loop: Header=BB5_25 Depth=2
	s_branch .LBB5_29
.LBB5_36:                               ;   in Loop: Header=BB5_22 Depth=1
	s_or_b64 exec, exec, s[30:31]
	v_mov_b32_e32 v2, v15
.LBB5_37:                               ;   in Loop: Header=BB5_22 Depth=1
	s_or_b64 exec, exec, s[12:13]
	v_cmp_lt_i32_e32 vcc, v4, v11
	s_waitcnt lgkmcnt(0)
	; wave barrier
	s_waitcnt lgkmcnt(0)
	s_and_saveexec_b64 s[12:13], vcc
	s_cbranch_execz .LBB5_52
; %bb.38:                               ;   in Loop: Header=BB5_22 Depth=1
	v_mul_lo_u32 v5, s15, v4
	v_add_u32_e32 v14, v8, v5
	v_add_u32_e32 v5, v10, v5
	v_mad_u64_u32 v[16:17], s[2:3], s15, v5, v[8:9]
	v_ashrrev_i32_e32 v5, 31, v4
	v_lshlrev_b64 v[18:19], 2, v[4:5]
	v_mov_b32_e32 v5, s7
	v_add_co_u32_e32 v18, vcc, s6, v18
	v_mad_u64_u32 v[14:15], s[2:3], s15, v14, v[10:11]
	v_addc_co_u32_e32 v19, vcc, v5, v19, vcc
	s_mov_b32 s21, 0
	s_mov_b64 s[30:31], 0
	s_branch .LBB5_40
.LBB5_39:                               ;   in Loop: Header=BB5_40 Depth=2
	s_or_b64 exec, exec, s[36:37]
	s_and_b64 s[2:3], exec, s[34:35]
	v_mov_b32_e32 v15, v4
	s_or_b64 s[30:31], s[2:3], s[30:31]
	v_mov_b32_e32 v4, v5
	s_andn2_b64 exec, exec, s[30:31]
	s_cbranch_execz .LBB5_51
.LBB5_40:                               ;   Parent Loop BB5_22 Depth=1
                                        ; =>  This Inner Loop Header: Depth=2
	global_load_dword v5, v[18:19], off
	s_waitcnt vmcnt(0)
	v_subrev_u32_e32 v5, s9, v5
	v_cmp_le_i32_e64 s[2:3], v5, v7
	s_and_saveexec_b64 s[34:35], s[2:3]
	s_xor_b64 s[34:35], exec, s[34:35]
	s_cbranch_execz .LBB5_46
; %bb.41:                               ;   in Loop: Header=BB5_40 Depth=2
	ds_write_b32 v20, v25
	s_and_saveexec_b64 s[36:37], s[0:1]
	s_cbranch_execz .LBB5_45
; %bb.42:                               ;   in Loop: Header=BB5_40 Depth=2
	s_and_b64 vcc, exec, s[4:5]
	s_cbranch_vccz .LBB5_50
; %bb.43:                               ;   in Loop: Header=BB5_40 Depth=2
	v_add_u32_e32 v26, s21, v16
	v_ashrrev_i32_e32 v27, 31, v26
	v_lshlrev_b64 v[26:27], 2, v[26:27]
	v_mov_b32_e32 v5, s29
	v_add_co_u32_e32 v26, vcc, s28, v26
	v_addc_co_u32_e32 v27, vcc, v5, v27, vcc
	global_load_dword v5, v[26:27], off
	ds_read_b32 v15, v22
	s_waitcnt vmcnt(0) lgkmcnt(0)
	v_fmac_f32_e32 v15, s22, v5
	ds_write_b32 v22, v15
	s_cbranch_execnz .LBB5_45
.LBB5_44:                               ;   in Loop: Header=BB5_40 Depth=2
	v_add_u32_e32 v26, s21, v14
	v_ashrrev_i32_e32 v27, 31, v26
	v_lshlrev_b64 v[26:27], 2, v[26:27]
	v_mov_b32_e32 v5, s29
	v_add_co_u32_e32 v26, vcc, s28, v26
	v_addc_co_u32_e32 v27, vcc, v5, v27, vcc
	global_load_dword v5, v[26:27], off
	ds_read_b32 v15, v23
	s_waitcnt vmcnt(0) lgkmcnt(0)
	v_fmac_f32_e32 v15, s22, v5
	ds_write_b32 v23, v15
.LBB5_45:                               ;   in Loop: Header=BB5_40 Depth=2
	s_or_b64 exec, exec, s[36:37]
                                        ; implicit-def: $vgpr5
	s_andn2_saveexec_b64 s[34:35], s[34:35]
	s_branch .LBB5_47
.LBB5_46:                               ;   in Loop: Header=BB5_40 Depth=2
	s_andn2_saveexec_b64 s[34:35], s[34:35]
.LBB5_47:                               ;   in Loop: Header=BB5_40 Depth=2
	v_min_i32_e32 v3, v5, v3
; %bb.48:                               ;   in Loop: Header=BB5_40 Depth=2
	s_or_b64 exec, exec, s[34:35]
	s_mov_b64 s[34:35], -1
                                        ; implicit-def: $vgpr5
	s_and_saveexec_b64 s[36:37], s[2:3]
	s_cbranch_execz .LBB5_39
; %bb.49:                               ;   in Loop: Header=BB5_40 Depth=2
	v_add_co_u32_e32 v18, vcc, 4, v18
	v_add_u32_e32 v5, 1, v4
	v_addc_co_u32_e32 v19, vcc, 0, v19, vcc
	v_cmp_ge_i32_e32 vcc, v5, v11
	s_add_i32 s21, s21, s11
	s_orn2_b64 s[34:35], vcc, exec
	v_mov_b32_e32 v4, v11
	s_branch .LBB5_39
.LBB5_50:                               ;   in Loop: Header=BB5_40 Depth=2
	s_branch .LBB5_44
.LBB5_51:                               ;   in Loop: Header=BB5_22 Depth=1
	s_or_b64 exec, exec, s[30:31]
	v_mov_b32_e32 v4, v15
.LBB5_52:                               ;   in Loop: Header=BB5_22 Depth=1
	s_or_b64 exec, exec, s[12:13]
	s_waitcnt lgkmcnt(0)
	; wave barrier
	s_waitcnt lgkmcnt(0)
	ds_read_b32 v5, v20
	s_waitcnt lgkmcnt(0)
	v_cmp_ne_u32_e32 vcc, 0, v5
	s_and_saveexec_b64 s[2:3], vcc
	s_cbranch_execz .LBB5_21
; %bb.53:                               ;   in Loop: Header=BB5_22 Depth=1
	v_add_u32_e32 v5, s10, v7
	v_ashrrev_i32_e32 v7, 31, v6
	v_lshlrev_b64 v[14:15], 2, v[6:7]
	v_mov_b32_e32 v7, s17
	v_add_co_u32_e32 v14, vcc, s16, v14
	v_addc_co_u32_e32 v15, vcc, v7, v15, vcc
	global_store_dword v[14:15], v5, off
	s_and_b64 exec, exec, s[0:1]
	s_cbranch_execz .LBB5_21
; %bb.54:                               ;   in Loop: Header=BB5_22 Depth=1
	v_mad_u64_u32 v[14:15], s[12:13], v6, s15, v[0:1]
	ds_read_b32 v5, v24
	v_mad_u64_u32 v[14:15], s[12:13], v14, s15, v[12:13]
	v_ashrrev_i32_e32 v15, 31, v14
	v_lshlrev_b64 v[14:15], 2, v[14:15]
	v_mov_b32_e32 v7, s19
	v_add_co_u32_e32 v14, vcc, s18, v14
	v_addc_co_u32_e32 v15, vcc, v7, v15, vcc
	s_waitcnt lgkmcnt(0)
	global_store_dword v[14:15], v5, off
	s_branch .LBB5_21
	.section	.rodata,"a",@progbits
	.p2align	6, 0x0
	.amdhsa_kernel _ZN9rocsparseL35bsrgeam_wf_per_row_multipass_kernelILj64ELj8EfEEv20rocsparse_direction_iiiNS_24const_host_device_scalarIT1_EEPKiS6_PKS3_S4_S6_S6_S8_S6_PiPS3_21rocsparse_index_base_SB_SB_b
		.amdhsa_group_segment_fixed_size 264
		.amdhsa_private_segment_fixed_size 0
		.amdhsa_kernarg_size 120
		.amdhsa_user_sgpr_count 6
		.amdhsa_user_sgpr_private_segment_buffer 1
		.amdhsa_user_sgpr_dispatch_ptr 0
		.amdhsa_user_sgpr_queue_ptr 0
		.amdhsa_user_sgpr_kernarg_segment_ptr 1
		.amdhsa_user_sgpr_dispatch_id 0
		.amdhsa_user_sgpr_flat_scratch_init 0
		.amdhsa_user_sgpr_kernarg_preload_length 0
		.amdhsa_user_sgpr_kernarg_preload_offset 0
		.amdhsa_user_sgpr_private_segment_size 0
		.amdhsa_uses_dynamic_stack 0
		.amdhsa_system_sgpr_private_segment_wavefront_offset 0
		.amdhsa_system_sgpr_workgroup_id_x 1
		.amdhsa_system_sgpr_workgroup_id_y 0
		.amdhsa_system_sgpr_workgroup_id_z 0
		.amdhsa_system_sgpr_workgroup_info 0
		.amdhsa_system_vgpr_workitem_id 0
		.amdhsa_next_free_vgpr 28
		.amdhsa_next_free_sgpr 38
		.amdhsa_accum_offset 28
		.amdhsa_reserve_vcc 1
		.amdhsa_reserve_flat_scratch 0
		.amdhsa_float_round_mode_32 0
		.amdhsa_float_round_mode_16_64 0
		.amdhsa_float_denorm_mode_32 3
		.amdhsa_float_denorm_mode_16_64 3
		.amdhsa_dx10_clamp 1
		.amdhsa_ieee_mode 1
		.amdhsa_fp16_overflow 0
		.amdhsa_tg_split 0
		.amdhsa_exception_fp_ieee_invalid_op 0
		.amdhsa_exception_fp_denorm_src 0
		.amdhsa_exception_fp_ieee_div_zero 0
		.amdhsa_exception_fp_ieee_overflow 0
		.amdhsa_exception_fp_ieee_underflow 0
		.amdhsa_exception_fp_ieee_inexact 0
		.amdhsa_exception_int_div_zero 0
	.end_amdhsa_kernel
	.section	.text._ZN9rocsparseL35bsrgeam_wf_per_row_multipass_kernelILj64ELj8EfEEv20rocsparse_direction_iiiNS_24const_host_device_scalarIT1_EEPKiS6_PKS3_S4_S6_S6_S8_S6_PiPS3_21rocsparse_index_base_SB_SB_b,"axG",@progbits,_ZN9rocsparseL35bsrgeam_wf_per_row_multipass_kernelILj64ELj8EfEEv20rocsparse_direction_iiiNS_24const_host_device_scalarIT1_EEPKiS6_PKS3_S4_S6_S6_S8_S6_PiPS3_21rocsparse_index_base_SB_SB_b,comdat
.Lfunc_end5:
	.size	_ZN9rocsparseL35bsrgeam_wf_per_row_multipass_kernelILj64ELj8EfEEv20rocsparse_direction_iiiNS_24const_host_device_scalarIT1_EEPKiS6_PKS3_S4_S6_S6_S8_S6_PiPS3_21rocsparse_index_base_SB_SB_b, .Lfunc_end5-_ZN9rocsparseL35bsrgeam_wf_per_row_multipass_kernelILj64ELj8EfEEv20rocsparse_direction_iiiNS_24const_host_device_scalarIT1_EEPKiS6_PKS3_S4_S6_S6_S8_S6_PiPS3_21rocsparse_index_base_SB_SB_b
                                        ; -- End function
	.section	.AMDGPU.csdata,"",@progbits
; Kernel info:
; codeLenInByte = 1764
; NumSgprs: 42
; NumVgprs: 28
; NumAgprs: 0
; TotalNumVgprs: 28
; ScratchSize: 0
; MemoryBound: 0
; FloatMode: 240
; IeeeMode: 1
; LDSByteSize: 264 bytes/workgroup (compile time only)
; SGPRBlocks: 5
; VGPRBlocks: 3
; NumSGPRsForWavesPerEU: 42
; NumVGPRsForWavesPerEU: 28
; AccumOffset: 28
; Occupancy: 8
; WaveLimiterHint : 0
; COMPUTE_PGM_RSRC2:SCRATCH_EN: 0
; COMPUTE_PGM_RSRC2:USER_SGPR: 6
; COMPUTE_PGM_RSRC2:TRAP_HANDLER: 0
; COMPUTE_PGM_RSRC2:TGID_X_EN: 1
; COMPUTE_PGM_RSRC2:TGID_Y_EN: 0
; COMPUTE_PGM_RSRC2:TGID_Z_EN: 0
; COMPUTE_PGM_RSRC2:TIDIG_COMP_CNT: 0
; COMPUTE_PGM_RSRC3_GFX90A:ACCUM_OFFSET: 6
; COMPUTE_PGM_RSRC3_GFX90A:TG_SPLIT: 0
	.section	.text._ZN9rocsparseL39bsrgeam_block_per_row_multipass_kernel2ILj256ELj16EfEEv20rocsparse_direction_iiiNS_24const_host_device_scalarIT1_EEPKiS6_PKS3_S4_S6_S6_S8_S6_PiPS3_21rocsparse_index_base_SB_SB_b,"axG",@progbits,_ZN9rocsparseL39bsrgeam_block_per_row_multipass_kernel2ILj256ELj16EfEEv20rocsparse_direction_iiiNS_24const_host_device_scalarIT1_EEPKiS6_PKS3_S4_S6_S6_S8_S6_PiPS3_21rocsparse_index_base_SB_SB_b,comdat
	.globl	_ZN9rocsparseL39bsrgeam_block_per_row_multipass_kernel2ILj256ELj16EfEEv20rocsparse_direction_iiiNS_24const_host_device_scalarIT1_EEPKiS6_PKS3_S4_S6_S6_S8_S6_PiPS3_21rocsparse_index_base_SB_SB_b ; -- Begin function _ZN9rocsparseL39bsrgeam_block_per_row_multipass_kernel2ILj256ELj16EfEEv20rocsparse_direction_iiiNS_24const_host_device_scalarIT1_EEPKiS6_PKS3_S4_S6_S6_S8_S6_PiPS3_21rocsparse_index_base_SB_SB_b
	.p2align	8
	.type	_ZN9rocsparseL39bsrgeam_block_per_row_multipass_kernel2ILj256ELj16EfEEv20rocsparse_direction_iiiNS_24const_host_device_scalarIT1_EEPKiS6_PKS3_S4_S6_S6_S8_S6_PiPS3_21rocsparse_index_base_SB_SB_b,@function
_ZN9rocsparseL39bsrgeam_block_per_row_multipass_kernel2ILj256ELj16EfEEv20rocsparse_direction_iiiNS_24const_host_device_scalarIT1_EEPKiS6_PKS3_S4_S6_S6_S8_S6_PiPS3_21rocsparse_index_base_SB_SB_b: ; @_ZN9rocsparseL39bsrgeam_block_per_row_multipass_kernel2ILj256ELj16EfEEv20rocsparse_direction_iiiNS_24const_host_device_scalarIT1_EEPKiS6_PKS3_S4_S6_S6_S8_S6_PiPS3_21rocsparse_index_base_SB_SB_b
; %bb.0:
	s_load_dwordx4 s[8:11], s[4:5], 0x68
	s_load_dwordx2 s[20:21], s[4:5], 0x50
	s_load_dwordx4 s[12:15], s[4:5], 0x10
	s_load_dwordx4 s[16:19], s[4:5], 0x30
	s_waitcnt lgkmcnt(0)
	s_bitcmp1_b32 s11, 0
	s_cselect_b64 s[2:3], -1, 0
	s_xor_b64 s[0:1], s[2:3], -1
	s_and_b64 vcc, exec, s[2:3]
	s_cbranch_vccnz .LBB6_2
; %bb.1:
	s_load_dword s12, s[12:13], 0x0
.LBB6_2:
	s_nop 0
	s_load_dwordx2 s[2:3], s[4:5], 0x20
	s_andn2_b64 vcc, exec, s[0:1]
	s_cbranch_vccnz .LBB6_4
; %bb.3:
	s_load_dword s16, s[16:17], 0x0
.LBB6_4:
	s_ashr_i32 s7, s6, 31
	s_lshl_b64 s[22:23], s[6:7], 2
	s_add_u32 s24, s14, s22
	s_addc_u32 s25, s15, s23
	s_load_dwordx2 s[0:1], s[24:25], 0x0
	s_load_dwordx2 s[6:7], s[4:5], 0x40
	;; [unrolled: 1-line block ×3, first 2 shown]
	s_waitcnt lgkmcnt(0)
	s_sub_i32 s34, s0, s8
	s_add_u32 s18, s18, s22
	s_addc_u32 s19, s19, s23
	s_load_dwordx2 s[26:27], s[18:19], 0x0
	s_add_u32 s28, s20, s22
	s_addc_u32 s29, s21, s23
	s_cmp_ge_i32 s0, s1
	s_mov_b32 s0, s14
	s_cbranch_scc1 .LBB6_6
; %bb.5:
	s_ashr_i32 s35, s34, 31
	s_lshl_b64 s[18:19], s[34:35], 2
	s_add_u32 s18, s2, s18
	s_addc_u32 s19, s3, s19
	s_load_dword s0, s[18:19], 0x0
	s_waitcnt lgkmcnt(0)
	s_sub_i32 s0, s0, s8
.LBB6_6:
	s_load_dwordx4 s[20:23], s[4:5], 0x58
	s_load_dwordx2 s[18:19], s[4:5], 0x28
	s_load_dwordx2 s[24:25], s[4:5], 0x48
	s_load_dword s17, s[28:29], 0x0
	s_waitcnt lgkmcnt(0)
	s_sub_i32 s36, s26, s9
	s_cmp_ge_i32 s26, s27
	s_mov_b32 s28, s14
	s_cbranch_scc1 .LBB6_8
; %bb.7:
	s_ashr_i32 s37, s36, 31
	s_lshl_b64 s[28:29], s[36:37], 2
	s_add_u32 s28, s6, s28
	s_addc_u32 s29, s7, s29
	s_load_dword s11, s[28:29], 0x0
	s_waitcnt lgkmcnt(0)
	s_sub_i32 s28, s11, s9
.LBB6_8:
	s_sub_i32 s26, s17, s10
	s_load_dword s17, s[4:5], 0x0
	v_and_b32_e32 v2, 15, v0
	v_lshrrev_b32_e32 v4, 4, v0
	s_sub_i32 s11, s1, s8
	s_sub_i32 s13, s27, s9
	s_min_i32 s27, s28, s0
	v_cmp_gt_u32_e32 vcc, s15, v2
	v_cmp_gt_i32_e64 s[0:1], s15, v4
	s_and_b64 s[4:5], vcc, s[0:1]
	v_lshlrev_b32_e32 v1, 2, v0
	s_waitcnt lgkmcnt(0)
	s_cmp_eq_u32 s17, 0
	v_lshlrev_b32_e32 v0, 2, v4
	v_lshl_or_b32 v3, v2, 6, v0
	s_cselect_b64 vcc, -1, 0
	s_cmp_lg_u32 s17, 0
	s_cselect_b64 s[28:29], -1, 0
	v_cndmask_b32_e32 v5, v3, v1, vcc
	v_cndmask_b32_e32 v18, v2, v4, vcc
	;; [unrolled: 1-line block ×3, first 2 shown]
	s_mul_i32 s17, s15, s15
	s_mov_b64 s[30:31], 0
	v_mov_b32_e32 v20, s27
	v_mov_b32_e32 v6, s36
	;; [unrolled: 1-line block ×5, first 2 shown]
	s_branch .LBB6_11
.LBB6_9:                                ;   in Loop: Header=BB6_11 Depth=1
	s_or_b64 exec, exec, s[0:1]
.LBB6_10:                               ;   in Loop: Header=BB6_11 Depth=1
	s_barrier
	ds_read_b32 v7, v11 offset:1024
	v_cmp_le_i32_e32 vcc, s14, v9
	v_mov_b32_e32 v20, v9
	s_waitcnt lgkmcnt(0)
	s_barrier
	v_readfirstlane_b32 s0, v7
	s_add_i32 s26, s0, s26
	s_or_b64 s[30:31], vcc, s[30:31]
	s_andn2_b64 exec, exec, s[30:31]
	s_cbranch_execz .LBB6_44
.LBB6_11:                               ; =>This Loop Header: Depth=1
                                        ;     Child Loop BB6_14 Depth 2
                                        ;     Child Loop BB6_29 Depth 2
	v_cmp_gt_i32_e32 vcc, s11, v8
	v_mov_b32_e32 v9, s14
	ds_write_b32 v11, v11 offset:1024
	ds_write_b32 v1, v11
	s_waitcnt lgkmcnt(0)
	s_barrier
	s_and_saveexec_b64 s[34:35], vcc
	s_cbranch_execz .LBB6_26
; %bb.12:                               ;   in Loop: Header=BB6_11 Depth=1
	v_mul_lo_u32 v7, s15, v8
	v_add_u32_e32 v9, v4, v7
	v_mad_u64_u32 v[12:13], s[0:1], s15, v9, v[2:3]
	v_ashrrev_i32_e32 v9, 31, v8
	v_add_u32_e32 v7, v2, v7
	v_lshlrev_b64 v[16:17], 2, v[8:9]
	v_mad_u64_u32 v[14:15], s[0:1], s15, v7, v[4:5]
	v_mov_b32_e32 v7, s3
	v_add_co_u32_e32 v16, vcc, s2, v16
	v_addc_co_u32_e32 v17, vcc, v7, v17, vcc
	s_mov_b32 s27, 0
	s_mov_b64 s[36:37], 0
	v_mov_b32_e32 v9, s14
	s_branch .LBB6_14
.LBB6_13:                               ;   in Loop: Header=BB6_14 Depth=2
	s_or_b64 exec, exec, s[40:41]
	s_and_b64 s[0:1], exec, s[38:39]
	s_or_b64 s[36:37], s[0:1], s[36:37]
	s_andn2_b64 exec, exec, s[36:37]
	s_cbranch_execz .LBB6_25
.LBB6_14:                               ;   Parent Loop BB6_11 Depth=1
                                        ; =>  This Inner Loop Header: Depth=2
	global_load_dword v7, v[16:17], off
	s_waitcnt vmcnt(0)
	v_subrev_u32_e32 v7, s8, v7
	v_cmp_eq_u32_e64 s[0:1], v7, v20
	v_cmp_ne_u32_e32 vcc, v7, v20
	s_and_saveexec_b64 s[38:39], vcc
	s_xor_b64 s[38:39], exec, s[38:39]
	s_cbranch_execnz .LBB6_17
; %bb.15:                               ;   in Loop: Header=BB6_14 Depth=2
	s_andn2_saveexec_b64 s[38:39], s[38:39]
	s_cbranch_execnz .LBB6_18
.LBB6_16:                               ;   in Loop: Header=BB6_14 Depth=2
	s_or_b64 exec, exec, s[38:39]
	s_mov_b64 s[38:39], -1
	s_and_saveexec_b64 s[40:41], s[0:1]
	s_cbranch_execz .LBB6_13
	s_branch .LBB6_24
.LBB6_17:                               ;   in Loop: Header=BB6_14 Depth=2
	v_min_i32_e32 v9, v7, v9
	s_andn2_saveexec_b64 s[38:39], s[38:39]
	s_cbranch_execz .LBB6_16
.LBB6_18:                               ;   in Loop: Header=BB6_14 Depth=2
	ds_write_b32 v11, v19 offset:1024
	s_and_saveexec_b64 s[40:41], s[4:5]
	s_cbranch_execz .LBB6_23
; %bb.19:                               ;   in Loop: Header=BB6_14 Depth=2
	s_and_b64 vcc, exec, s[28:29]
	s_cbranch_vccz .LBB6_21
; %bb.20:                               ;   in Loop: Header=BB6_14 Depth=2
	v_add_u32_e32 v10, s27, v14
	v_lshlrev_b64 v[22:23], 2, v[10:11]
	v_mov_b32_e32 v7, s19
	v_add_co_u32_e32 v22, vcc, s18, v22
	v_addc_co_u32_e32 v23, vcc, v7, v23, vcc
	global_load_dword v7, v[22:23], off
	s_waitcnt vmcnt(0)
	v_mul_f32_e32 v7, s12, v7
	ds_write_b32 v3, v7
	s_cbranch_execz .LBB6_22
	s_branch .LBB6_23
.LBB6_21:                               ;   in Loop: Header=BB6_14 Depth=2
.LBB6_22:                               ;   in Loop: Header=BB6_14 Depth=2
	v_add_u32_e32 v10, s27, v12
	v_lshlrev_b64 v[22:23], 2, v[10:11]
	v_mov_b32_e32 v7, s19
	v_add_co_u32_e32 v22, vcc, s18, v22
	v_addc_co_u32_e32 v23, vcc, v7, v23, vcc
	global_load_dword v7, v[22:23], off
	s_waitcnt vmcnt(0)
	v_mul_f32_e32 v7, s12, v7
	ds_write_b32 v1, v7
.LBB6_23:                               ;   in Loop: Header=BB6_14 Depth=2
	s_or_b64 exec, exec, s[40:41]
	s_or_b64 exec, exec, s[38:39]
	s_mov_b64 s[38:39], -1
	s_and_saveexec_b64 s[40:41], s[0:1]
	s_cbranch_execz .LBB6_13
.LBB6_24:                               ;   in Loop: Header=BB6_14 Depth=2
	v_add_co_u32_e32 v16, vcc, 4, v16
	v_add_u32_e32 v8, 1, v8
	v_addc_co_u32_e32 v17, vcc, 0, v17, vcc
	v_cmp_le_i32_e32 vcc, s11, v8
	s_add_i32 s27, s27, s17
	s_orn2_b64 s[38:39], vcc, exec
	s_branch .LBB6_13
.LBB6_25:                               ;   in Loop: Header=BB6_11 Depth=1
	s_or_b64 exec, exec, s[36:37]
.LBB6_26:                               ;   in Loop: Header=BB6_11 Depth=1
	s_or_b64 exec, exec, s[34:35]
	v_cmp_gt_i32_e32 vcc, s13, v6
	s_waitcnt lgkmcnt(0)
	s_barrier
	s_and_saveexec_b64 s[34:35], vcc
	s_cbranch_execz .LBB6_41
; %bb.27:                               ;   in Loop: Header=BB6_11 Depth=1
	v_mul_lo_u32 v7, s15, v6
	v_add_u32_e32 v10, v4, v7
	v_add_u32_e32 v7, v2, v7
	v_mad_u64_u32 v[14:15], s[0:1], s15, v7, v[4:5]
	v_ashrrev_i32_e32 v7, 31, v6
	v_lshlrev_b64 v[16:17], 2, v[6:7]
	v_mov_b32_e32 v7, s7
	v_add_co_u32_e32 v16, vcc, s6, v16
	v_mad_u64_u32 v[12:13], s[0:1], s15, v10, v[2:3]
	v_addc_co_u32_e32 v17, vcc, v7, v17, vcc
	s_mov_b32 s27, 0
	s_mov_b64 s[36:37], 0
	s_branch .LBB6_29
.LBB6_28:                               ;   in Loop: Header=BB6_29 Depth=2
	s_or_b64 exec, exec, s[40:41]
	s_and_b64 s[0:1], exec, s[38:39]
	s_or_b64 s[36:37], s[0:1], s[36:37]
	s_andn2_b64 exec, exec, s[36:37]
	s_cbranch_execz .LBB6_40
.LBB6_29:                               ;   Parent Loop BB6_11 Depth=1
                                        ; =>  This Inner Loop Header: Depth=2
	global_load_dword v7, v[16:17], off
	s_waitcnt vmcnt(0)
	v_subrev_u32_e32 v7, s9, v7
	v_cmp_eq_u32_e64 s[0:1], v7, v20
	v_cmp_ne_u32_e32 vcc, v7, v20
	s_and_saveexec_b64 s[38:39], vcc
	s_xor_b64 s[38:39], exec, s[38:39]
	s_cbranch_execnz .LBB6_32
; %bb.30:                               ;   in Loop: Header=BB6_29 Depth=2
	s_andn2_saveexec_b64 s[38:39], s[38:39]
	s_cbranch_execnz .LBB6_33
.LBB6_31:                               ;   in Loop: Header=BB6_29 Depth=2
	s_or_b64 exec, exec, s[38:39]
	s_mov_b64 s[38:39], -1
	s_and_saveexec_b64 s[40:41], s[0:1]
	s_cbranch_execz .LBB6_28
	s_branch .LBB6_39
.LBB6_32:                               ;   in Loop: Header=BB6_29 Depth=2
	v_min_i32_e32 v9, v7, v9
	s_andn2_saveexec_b64 s[38:39], s[38:39]
	s_cbranch_execz .LBB6_31
.LBB6_33:                               ;   in Loop: Header=BB6_29 Depth=2
	ds_write_b32 v11, v19 offset:1024
	s_and_saveexec_b64 s[40:41], s[4:5]
	s_cbranch_execz .LBB6_38
; %bb.34:                               ;   in Loop: Header=BB6_29 Depth=2
	s_and_b64 vcc, exec, s[28:29]
	s_cbranch_vccz .LBB6_36
; %bb.35:                               ;   in Loop: Header=BB6_29 Depth=2
	v_add_u32_e32 v10, s27, v14
	v_lshlrev_b64 v[22:23], 2, v[10:11]
	v_mov_b32_e32 v7, s25
	v_add_co_u32_e32 v22, vcc, s24, v22
	v_addc_co_u32_e32 v23, vcc, v7, v23, vcc
	global_load_dword v7, v[22:23], off
	ds_read_b32 v10, v3
	s_waitcnt vmcnt(0) lgkmcnt(0)
	v_fmac_f32_e32 v10, s16, v7
	ds_write_b32 v3, v10
	s_cbranch_execz .LBB6_37
	s_branch .LBB6_38
.LBB6_36:                               ;   in Loop: Header=BB6_29 Depth=2
.LBB6_37:                               ;   in Loop: Header=BB6_29 Depth=2
	v_add_u32_e32 v10, s27, v12
	v_lshlrev_b64 v[22:23], 2, v[10:11]
	v_mov_b32_e32 v7, s25
	v_add_co_u32_e32 v22, vcc, s24, v22
	v_addc_co_u32_e32 v23, vcc, v7, v23, vcc
	global_load_dword v7, v[22:23], off
	ds_read_b32 v10, v1
	s_waitcnt vmcnt(0) lgkmcnt(0)
	v_fmac_f32_e32 v10, s16, v7
	ds_write_b32 v1, v10
.LBB6_38:                               ;   in Loop: Header=BB6_29 Depth=2
	s_or_b64 exec, exec, s[40:41]
	s_or_b64 exec, exec, s[38:39]
	s_mov_b64 s[38:39], -1
	s_and_saveexec_b64 s[40:41], s[0:1]
	s_cbranch_execz .LBB6_28
.LBB6_39:                               ;   in Loop: Header=BB6_29 Depth=2
	v_add_co_u32_e32 v16, vcc, 4, v16
	v_add_u32_e32 v6, 1, v6
	v_addc_co_u32_e32 v17, vcc, 0, v17, vcc
	v_cmp_le_i32_e32 vcc, s13, v6
	s_add_i32 s27, s27, s17
	s_orn2_b64 s[38:39], vcc, exec
	s_branch .LBB6_28
.LBB6_40:                               ;   in Loop: Header=BB6_11 Depth=1
	s_or_b64 exec, exec, s[36:37]
.LBB6_41:                               ;   in Loop: Header=BB6_11 Depth=1
	s_or_b64 exec, exec, s[34:35]
	s_waitcnt lgkmcnt(0)
	s_barrier
	ds_read_b32 v7, v11 offset:1024
	s_waitcnt lgkmcnt(0)
	v_cmp_eq_u32_e32 vcc, 0, v7
	s_cbranch_vccnz .LBB6_10
; %bb.42:                               ;   in Loop: Header=BB6_11 Depth=1
	s_ashr_i32 s27, s26, 31
	s_lshl_b64 s[0:1], s[26:27], 2
	s_add_u32 s0, s20, s0
	v_add_u32_e32 v7, s10, v20
	s_addc_u32 s1, s21, s1
	global_store_dword v11, v7, s[0:1]
	s_and_saveexec_b64 s[0:1], s[4:5]
	s_cbranch_execz .LBB6_9
; %bb.43:                               ;   in Loop: Header=BB6_11 Depth=1
	s_mul_i32 s27, s26, s15
	v_add_u32_e32 v10, s27, v18
	ds_read_b32 v7, v5
	v_mad_u64_u32 v[12:13], s[34:35], v10, s15, v[0:1]
	v_mov_b32_e32 v13, v11
	v_lshlrev_b64 v[12:13], 2, v[12:13]
	v_mov_b32_e32 v10, s23
	v_add_co_u32_e32 v12, vcc, s22, v12
	v_addc_co_u32_e32 v13, vcc, v10, v13, vcc
	s_waitcnt lgkmcnt(0)
	global_store_dword v[12:13], v7, off
	s_branch .LBB6_9
.LBB6_44:
	s_endpgm
	.section	.rodata,"a",@progbits
	.p2align	6, 0x0
	.amdhsa_kernel _ZN9rocsparseL39bsrgeam_block_per_row_multipass_kernel2ILj256ELj16EfEEv20rocsparse_direction_iiiNS_24const_host_device_scalarIT1_EEPKiS6_PKS3_S4_S6_S6_S8_S6_PiPS3_21rocsparse_index_base_SB_SB_b
		.amdhsa_group_segment_fixed_size 1028
		.amdhsa_private_segment_fixed_size 0
		.amdhsa_kernarg_size 120
		.amdhsa_user_sgpr_count 6
		.amdhsa_user_sgpr_private_segment_buffer 1
		.amdhsa_user_sgpr_dispatch_ptr 0
		.amdhsa_user_sgpr_queue_ptr 0
		.amdhsa_user_sgpr_kernarg_segment_ptr 1
		.amdhsa_user_sgpr_dispatch_id 0
		.amdhsa_user_sgpr_flat_scratch_init 0
		.amdhsa_user_sgpr_kernarg_preload_length 0
		.amdhsa_user_sgpr_kernarg_preload_offset 0
		.amdhsa_user_sgpr_private_segment_size 0
		.amdhsa_uses_dynamic_stack 0
		.amdhsa_system_sgpr_private_segment_wavefront_offset 0
		.amdhsa_system_sgpr_workgroup_id_x 1
		.amdhsa_system_sgpr_workgroup_id_y 0
		.amdhsa_system_sgpr_workgroup_id_z 0
		.amdhsa_system_sgpr_workgroup_info 0
		.amdhsa_system_vgpr_workitem_id 0
		.amdhsa_next_free_vgpr 24
		.amdhsa_next_free_sgpr 42
		.amdhsa_accum_offset 24
		.amdhsa_reserve_vcc 1
		.amdhsa_reserve_flat_scratch 0
		.amdhsa_float_round_mode_32 0
		.amdhsa_float_round_mode_16_64 0
		.amdhsa_float_denorm_mode_32 3
		.amdhsa_float_denorm_mode_16_64 3
		.amdhsa_dx10_clamp 1
		.amdhsa_ieee_mode 1
		.amdhsa_fp16_overflow 0
		.amdhsa_tg_split 0
		.amdhsa_exception_fp_ieee_invalid_op 0
		.amdhsa_exception_fp_denorm_src 0
		.amdhsa_exception_fp_ieee_div_zero 0
		.amdhsa_exception_fp_ieee_overflow 0
		.amdhsa_exception_fp_ieee_underflow 0
		.amdhsa_exception_fp_ieee_inexact 0
		.amdhsa_exception_int_div_zero 0
	.end_amdhsa_kernel
	.section	.text._ZN9rocsparseL39bsrgeam_block_per_row_multipass_kernel2ILj256ELj16EfEEv20rocsparse_direction_iiiNS_24const_host_device_scalarIT1_EEPKiS6_PKS3_S4_S6_S6_S8_S6_PiPS3_21rocsparse_index_base_SB_SB_b,"axG",@progbits,_ZN9rocsparseL39bsrgeam_block_per_row_multipass_kernel2ILj256ELj16EfEEv20rocsparse_direction_iiiNS_24const_host_device_scalarIT1_EEPKiS6_PKS3_S4_S6_S6_S8_S6_PiPS3_21rocsparse_index_base_SB_SB_b,comdat
.Lfunc_end6:
	.size	_ZN9rocsparseL39bsrgeam_block_per_row_multipass_kernel2ILj256ELj16EfEEv20rocsparse_direction_iiiNS_24const_host_device_scalarIT1_EEPKiS6_PKS3_S4_S6_S6_S8_S6_PiPS3_21rocsparse_index_base_SB_SB_b, .Lfunc_end6-_ZN9rocsparseL39bsrgeam_block_per_row_multipass_kernel2ILj256ELj16EfEEv20rocsparse_direction_iiiNS_24const_host_device_scalarIT1_EEPKiS6_PKS3_S4_S6_S6_S8_S6_PiPS3_21rocsparse_index_base_SB_SB_b
                                        ; -- End function
	.section	.AMDGPU.csdata,"",@progbits
; Kernel info:
; codeLenInByte = 1388
; NumSgprs: 46
; NumVgprs: 24
; NumAgprs: 0
; TotalNumVgprs: 24
; ScratchSize: 0
; MemoryBound: 0
; FloatMode: 240
; IeeeMode: 1
; LDSByteSize: 1028 bytes/workgroup (compile time only)
; SGPRBlocks: 5
; VGPRBlocks: 2
; NumSGPRsForWavesPerEU: 46
; NumVGPRsForWavesPerEU: 24
; AccumOffset: 24
; Occupancy: 8
; WaveLimiterHint : 1
; COMPUTE_PGM_RSRC2:SCRATCH_EN: 0
; COMPUTE_PGM_RSRC2:USER_SGPR: 6
; COMPUTE_PGM_RSRC2:TRAP_HANDLER: 0
; COMPUTE_PGM_RSRC2:TGID_X_EN: 1
; COMPUTE_PGM_RSRC2:TGID_Y_EN: 0
; COMPUTE_PGM_RSRC2:TGID_Z_EN: 0
; COMPUTE_PGM_RSRC2:TIDIG_COMP_CNT: 0
; COMPUTE_PGM_RSRC3_GFX90A:ACCUM_OFFSET: 5
; COMPUTE_PGM_RSRC3_GFX90A:TG_SPLIT: 0
	.section	.text._ZN9rocsparseL39bsrgeam_block_per_row_multipass_kernel2ILj256ELj32EfEEv20rocsparse_direction_iiiNS_24const_host_device_scalarIT1_EEPKiS6_PKS3_S4_S6_S6_S8_S6_PiPS3_21rocsparse_index_base_SB_SB_b,"axG",@progbits,_ZN9rocsparseL39bsrgeam_block_per_row_multipass_kernel2ILj256ELj32EfEEv20rocsparse_direction_iiiNS_24const_host_device_scalarIT1_EEPKiS6_PKS3_S4_S6_S6_S8_S6_PiPS3_21rocsparse_index_base_SB_SB_b,comdat
	.globl	_ZN9rocsparseL39bsrgeam_block_per_row_multipass_kernel2ILj256ELj32EfEEv20rocsparse_direction_iiiNS_24const_host_device_scalarIT1_EEPKiS6_PKS3_S4_S6_S6_S8_S6_PiPS3_21rocsparse_index_base_SB_SB_b ; -- Begin function _ZN9rocsparseL39bsrgeam_block_per_row_multipass_kernel2ILj256ELj32EfEEv20rocsparse_direction_iiiNS_24const_host_device_scalarIT1_EEPKiS6_PKS3_S4_S6_S6_S8_S6_PiPS3_21rocsparse_index_base_SB_SB_b
	.p2align	8
	.type	_ZN9rocsparseL39bsrgeam_block_per_row_multipass_kernel2ILj256ELj32EfEEv20rocsparse_direction_iiiNS_24const_host_device_scalarIT1_EEPKiS6_PKS3_S4_S6_S6_S8_S6_PiPS3_21rocsparse_index_base_SB_SB_b,@function
_ZN9rocsparseL39bsrgeam_block_per_row_multipass_kernel2ILj256ELj32EfEEv20rocsparse_direction_iiiNS_24const_host_device_scalarIT1_EEPKiS6_PKS3_S4_S6_S6_S8_S6_PiPS3_21rocsparse_index_base_SB_SB_b: ; @_ZN9rocsparseL39bsrgeam_block_per_row_multipass_kernel2ILj256ELj32EfEEv20rocsparse_direction_iiiNS_24const_host_device_scalarIT1_EEPKiS6_PKS3_S4_S6_S6_S8_S6_PiPS3_21rocsparse_index_base_SB_SB_b
; %bb.0:
	s_load_dwordx4 s[8:11], s[4:5], 0x68
	s_load_dwordx2 s[20:21], s[4:5], 0x50
	s_load_dwordx4 s[12:15], s[4:5], 0x10
	s_load_dwordx4 s[16:19], s[4:5], 0x30
	s_waitcnt lgkmcnt(0)
	s_bitcmp1_b32 s11, 0
	s_cselect_b64 s[2:3], -1, 0
	s_xor_b64 s[0:1], s[2:3], -1
	s_and_b64 vcc, exec, s[2:3]
	s_cbranch_vccnz .LBB7_2
; %bb.1:
	s_load_dword s12, s[12:13], 0x0
.LBB7_2:
	s_nop 0
	s_load_dwordx2 s[2:3], s[4:5], 0x20
	s_andn2_b64 vcc, exec, s[0:1]
	s_cbranch_vccnz .LBB7_4
; %bb.3:
	s_load_dword s16, s[16:17], 0x0
.LBB7_4:
	s_ashr_i32 s7, s6, 31
	s_lshl_b64 s[22:23], s[6:7], 2
	s_add_u32 s24, s14, s22
	s_addc_u32 s25, s15, s23
	s_load_dwordx2 s[0:1], s[24:25], 0x0
	s_load_dwordx2 s[6:7], s[4:5], 0x40
	s_load_dwordx2 s[14:15], s[4:5], 0x8
	s_waitcnt lgkmcnt(0)
	s_sub_i32 s24, s0, s8
	s_add_u32 s18, s18, s22
	s_addc_u32 s19, s19, s23
	s_load_dwordx2 s[30:31], s[18:19], 0x0
	s_add_u32 s28, s20, s22
	s_addc_u32 s29, s21, s23
	s_cmp_ge_i32 s0, s1
	s_mov_b32 s0, s14
	s_cbranch_scc1 .LBB7_6
; %bb.5:
	s_ashr_i32 s25, s24, 31
	s_lshl_b64 s[18:19], s[24:25], 2
	s_add_u32 s18, s2, s18
	s_addc_u32 s19, s3, s19
	s_load_dword s0, s[18:19], 0x0
	s_waitcnt lgkmcnt(0)
	s_sub_i32 s0, s0, s8
.LBB7_6:
	s_load_dwordx4 s[20:23], s[4:5], 0x58
	s_load_dwordx2 s[18:19], s[4:5], 0x28
	s_load_dwordx2 s[26:27], s[4:5], 0x48
	s_load_dword s17, s[28:29], 0x0
	s_waitcnt lgkmcnt(0)
	s_sub_i32 s28, s30, s9
	s_cmp_ge_i32 s30, s31
	s_mov_b32 s25, s14
	s_cbranch_scc1 .LBB7_8
; %bb.7:
	s_ashr_i32 s29, s28, 31
	s_lshl_b64 s[34:35], s[28:29], 2
	s_add_u32 s34, s6, s34
	s_addc_u32 s35, s7, s35
	s_load_dword s11, s[34:35], 0x0
	s_waitcnt lgkmcnt(0)
	s_sub_i32 s25, s11, s9
.LBB7_8:
	s_sub_i32 s11, s1, s8
	s_load_dword s1, s[4:5], 0x0
	v_and_b32_e32 v1, 7, v0
	v_lshrrev_b32_e32 v0, 3, v0
	s_sub_i32 s13, s31, s9
	s_sub_i32 s4, s17, s10
	s_min_i32 s5, s25, s0
	v_cmp_gt_i32_e32 vcc, s15, v0
	s_waitcnt lgkmcnt(0)
	s_cmp_lg_u32 s1, 0
	v_cmp_gt_u32_e64 s[0:1], s15, v1
	v_or_b32_e32 v7, 8, v1
	s_cselect_b64 s[30:31], -1, 0
	s_and_b64 s[34:35], vcc, s[0:1]
	v_cmp_gt_u32_e64 s[0:1], s15, v7
	v_or_b32_e32 v10, 16, v1
	v_lshlrev_b32_e32 v2, 5, v0
	s_and_b64 s[36:37], vcc, s[0:1]
	v_cmp_gt_u32_e64 s[0:1], s15, v10
	v_or_b32_e32 v13, 24, v1
	v_or_b32_e32 v4, v2, v1
	;; [unrolled: 1-line block ×3, first 2 shown]
	s_and_b64 s[38:39], vcc, s[0:1]
	v_or_b32_e32 v12, v10, v2
	v_cmp_gt_u32_e64 s[0:1], s15, v13
	v_or_b32_e32 v15, v13, v2
	v_cndmask_b32_e64 v2, 0, 1, s[30:31]
	v_lshlrev_b32_e32 v5, 2, v4
	v_lshl_or_b32 v6, v1, 5, v0
	v_lshl_or_b32 v8, v7, 5, v0
	;; [unrolled: 1-line block ×3, first 2 shown]
	s_and_b64 s[40:41], vcc, s[0:1]
	v_lshl_or_b32 v14, v13, 5, v0
	s_mul_i32 s17, s15, s15
	v_mov_b32_e32 v3, 0
	v_mov_b32_e32 v16, 1
	v_cmp_ne_u32_e64 s[0:1], 1, v2
	s_branch .LBB7_12
.LBB7_9:                                ;   in Loop: Header=BB7_12 Depth=1
	v_lshlrev_b32_e32 v17, 2, v18
	ds_read_b32 v17, v17
	v_lshlrev_b64 v[18:19], 2, v[2:3]
	v_mov_b32_e32 v2, s23
	v_add_co_u32_e32 v18, vcc, s22, v18
	v_addc_co_u32_e32 v19, vcc, v2, v19, vcc
	s_waitcnt lgkmcnt(0)
	global_store_dword v[18:19], v17, off
.LBB7_10:                               ;   in Loop: Header=BB7_12 Depth=1
	s_or_b64 exec, exec, s[42:43]
.LBB7_11:                               ;   in Loop: Header=BB7_12 Depth=1
	s_barrier
	ds_read_b32 v2, v3 offset:4096
	s_waitcnt lgkmcnt(0)
	s_barrier
	v_readfirstlane_b32 s5, v2
	s_add_i32 s4, s5, s4
	s_cmp_lt_i32 s29, s14
	s_mov_b32 s5, s29
	s_cbranch_scc0 .LBB7_104
.LBB7_12:                               ; =>This Loop Header: Depth=1
                                        ;     Child Loop BB7_15 Depth 2
                                        ;     Child Loop BB7_49 Depth 2
	s_cmp_ge_i32 s24, s11
	ds_write_b32 v3, v3 offset:4096
	ds_write2_b32 v5, v3, v3 offset1:8
	ds_write2_b32 v5, v3, v3 offset0:16 offset1:24
	s_waitcnt lgkmcnt(0)
	s_barrier
	s_cbranch_scc1 .LBB7_45
; %bb.13:                               ;   in Loop: Header=BB7_12 Depth=1
	s_mul_i32 s25, s15, s24
	v_add_u32_e32 v2, s25, v1
	v_mul_lo_u32 v17, s15, v2
	v_add_u32_e32 v2, s25, v7
	v_mul_lo_u32 v18, s15, v2
	;; [unrolled: 2-line block ×3, first 2 shown]
	v_add_u32_e32 v2, s25, v13
	s_ashr_i32 s25, s24, 31
	s_lshl_b64 s[42:43], s[24:25], 2
	s_add_u32 s42, s2, s42
	v_mul_lo_u32 v20, s15, v2
	s_addc_u32 s43, s3, s43
	v_mov_b32_e32 v21, v0
	s_mov_b32 s29, s14
	s_branch .LBB7_15
.LBB7_14:                               ;   in Loop: Header=BB7_15 Depth=2
	s_add_i32 s24, s24, 1
	s_add_u32 s42, s42, 4
	s_addc_u32 s43, s43, 0
	s_cmp_ge_i32 s24, s11
	v_add_u32_e32 v21, s17, v21
	s_cselect_b64 s[44:45], -1, 0
	s_andn2_b64 vcc, exec, s[44:45]
	s_mov_b32 s29, s25
	s_cbranch_vccz .LBB7_46
.LBB7_15:                               ;   Parent Loop BB7_12 Depth=1
                                        ; =>  This Inner Loop Header: Depth=2
	s_load_dword s25, s[42:43], 0x0
	s_mov_b64 s[46:47], -1
	s_waitcnt lgkmcnt(0)
	s_sub_i32 s33, s25, s8
	s_cmp_eq_u32 s33, s5
	s_cselect_b64 s[44:45], -1, 0
	s_cmp_lg_u32 s33, s5
                                        ; implicit-def: $sgpr25
	s_cbranch_scc1 .LBB7_18
; %bb.16:                               ;   in Loop: Header=BB7_15 Depth=2
	s_andn2_b64 vcc, exec, s[46:47]
	s_cbranch_vccz .LBB7_19
.LBB7_17:                               ;   in Loop: Header=BB7_15 Depth=2
	s_andn2_b64 vcc, exec, s[44:45]
	s_cbranch_vccz .LBB7_14
	s_branch .LBB7_40
.LBB7_18:                               ;   in Loop: Header=BB7_15 Depth=2
	s_min_i32 s25, s33, s29
	s_cbranch_execnz .LBB7_17
.LBB7_19:                               ;   in Loop: Header=BB7_15 Depth=2
	s_mul_i32 s25, s24, s15
	v_add_u32_e32 v2, s25, v0
	v_mul_lo_u32 v22, v2, s15
	ds_write_b32 v3, v16 offset:4096
	s_and_saveexec_b64 s[46:47], s[34:35]
	s_cbranch_execnz .LBB7_23
; %bb.20:                               ;   in Loop: Header=BB7_15 Depth=2
	s_or_b64 exec, exec, s[46:47]
	s_and_saveexec_b64 s[46:47], s[36:37]
	s_cbranch_execnz .LBB7_27
.LBB7_21:                               ;   in Loop: Header=BB7_15 Depth=2
	s_or_b64 exec, exec, s[46:47]
	s_and_saveexec_b64 s[46:47], s[38:39]
	s_cbranch_execnz .LBB7_31
.LBB7_22:                               ;   in Loop: Header=BB7_15 Depth=2
	s_or_b64 exec, exec, s[46:47]
	s_and_saveexec_b64 s[46:47], s[40:41]
	s_cbranch_execnz .LBB7_35
	s_branch .LBB7_39
.LBB7_23:                               ;   in Loop: Header=BB7_15 Depth=2
	s_and_b64 vcc, exec, s[30:31]
	s_cbranch_vccz .LBB7_41
; %bb.24:                               ;   in Loop: Header=BB7_15 Depth=2
	v_add_u32_e32 v2, v17, v21
	v_mov_b32_e32 v23, v6
	s_cbranch_execnz .LBB7_26
.LBB7_25:                               ;   in Loop: Header=BB7_15 Depth=2
	v_add_u32_e32 v2, v22, v1
	v_mov_b32_e32 v23, v4
.LBB7_26:                               ;   in Loop: Header=BB7_15 Depth=2
	v_lshlrev_b64 v[24:25], 2, v[2:3]
	v_mov_b32_e32 v2, s19
	v_add_co_u32_e32 v24, vcc, s18, v24
	v_addc_co_u32_e32 v25, vcc, v2, v25, vcc
	global_load_dword v2, v[24:25], off
	v_lshlrev_b32_e32 v23, 2, v23
	s_waitcnt vmcnt(0)
	v_mul_f32_e32 v2, s12, v2
	ds_write_b32 v23, v2
	s_or_b64 exec, exec, s[46:47]
	s_and_saveexec_b64 s[46:47], s[36:37]
	s_cbranch_execz .LBB7_21
.LBB7_27:                               ;   in Loop: Header=BB7_15 Depth=2
	s_and_b64 vcc, exec, s[0:1]
	s_cbranch_vccnz .LBB7_42
; %bb.28:                               ;   in Loop: Header=BB7_15 Depth=2
	v_add_u32_e32 v2, v18, v21
	v_mov_b32_e32 v23, v8
	s_cbranch_execnz .LBB7_30
.LBB7_29:                               ;   in Loop: Header=BB7_15 Depth=2
	v_add_u32_e32 v2, v22, v7
	v_mov_b32_e32 v23, v9
.LBB7_30:                               ;   in Loop: Header=BB7_15 Depth=2
	v_lshlrev_b64 v[24:25], 2, v[2:3]
	v_mov_b32_e32 v2, s19
	v_add_co_u32_e32 v24, vcc, s18, v24
	v_addc_co_u32_e32 v25, vcc, v2, v25, vcc
	global_load_dword v2, v[24:25], off
	v_lshlrev_b32_e32 v23, 2, v23
	s_waitcnt vmcnt(0)
	v_mul_f32_e32 v2, s12, v2
	ds_write_b32 v23, v2
	s_or_b64 exec, exec, s[46:47]
	s_and_saveexec_b64 s[46:47], s[38:39]
	s_cbranch_execz .LBB7_22
.LBB7_31:                               ;   in Loop: Header=BB7_15 Depth=2
	s_and_b64 vcc, exec, s[0:1]
	s_cbranch_vccnz .LBB7_43
; %bb.32:                               ;   in Loop: Header=BB7_15 Depth=2
	v_add_u32_e32 v2, v19, v21
	v_mov_b32_e32 v23, v11
	s_cbranch_execnz .LBB7_34
.LBB7_33:                               ;   in Loop: Header=BB7_15 Depth=2
	v_add_u32_e32 v2, v22, v10
	v_mov_b32_e32 v23, v12
.LBB7_34:                               ;   in Loop: Header=BB7_15 Depth=2
	v_lshlrev_b64 v[24:25], 2, v[2:3]
	v_mov_b32_e32 v2, s19
	v_add_co_u32_e32 v24, vcc, s18, v24
	v_addc_co_u32_e32 v25, vcc, v2, v25, vcc
	global_load_dword v2, v[24:25], off
	v_lshlrev_b32_e32 v23, 2, v23
	s_waitcnt vmcnt(0)
	v_mul_f32_e32 v2, s12, v2
	ds_write_b32 v23, v2
	s_or_b64 exec, exec, s[46:47]
	s_and_saveexec_b64 s[46:47], s[40:41]
	s_cbranch_execz .LBB7_39
.LBB7_35:                               ;   in Loop: Header=BB7_15 Depth=2
	s_and_b64 vcc, exec, s[0:1]
	s_cbranch_vccnz .LBB7_44
; %bb.36:                               ;   in Loop: Header=BB7_15 Depth=2
	v_add_u32_e32 v2, v20, v21
	v_mov_b32_e32 v23, v14
	s_cbranch_execnz .LBB7_38
.LBB7_37:                               ;   in Loop: Header=BB7_15 Depth=2
	v_add_u32_e32 v2, v22, v13
	v_mov_b32_e32 v23, v15
.LBB7_38:                               ;   in Loop: Header=BB7_15 Depth=2
	v_lshlrev_b64 v[24:25], 2, v[2:3]
	v_mov_b32_e32 v2, s19
	v_add_co_u32_e32 v24, vcc, s18, v24
	v_addc_co_u32_e32 v25, vcc, v2, v25, vcc
	global_load_dword v2, v[24:25], off
	v_lshlrev_b32_e32 v22, 2, v23
	s_waitcnt vmcnt(0)
	v_mul_f32_e32 v2, s12, v2
	ds_write_b32 v22, v2
.LBB7_39:                               ;   in Loop: Header=BB7_15 Depth=2
	s_or_b64 exec, exec, s[46:47]
	s_mov_b32 s25, s29
	s_andn2_b64 vcc, exec, s[44:45]
	s_cbranch_vccz .LBB7_14
.LBB7_40:                               ;   in Loop: Header=BB7_12 Depth=1
                                        ; implicit-def: $vgpr21
                                        ; implicit-def: $sgpr42_sgpr43
	s_mov_b32 s29, s25
	s_branch .LBB7_46
.LBB7_41:                               ;   in Loop: Header=BB7_15 Depth=2
	v_mov_b32_e32 v23, v6
	s_branch .LBB7_25
.LBB7_42:                               ;   in Loop: Header=BB7_15 Depth=2
	v_mov_b32_e32 v23, v8
	s_branch .LBB7_29
.LBB7_43:                               ;   in Loop: Header=BB7_15 Depth=2
	v_mov_b32_e32 v23, v11
	s_branch .LBB7_33
.LBB7_44:                               ;   in Loop: Header=BB7_15 Depth=2
	v_mov_b32_e32 v23, v14
	s_branch .LBB7_37
.LBB7_45:                               ;   in Loop: Header=BB7_12 Depth=1
	s_mov_b32 s25, s14
.LBB7_46:                               ;   in Loop: Header=BB7_12 Depth=1
	s_cmp_ge_i32 s28, s13
	s_waitcnt lgkmcnt(0)
	s_barrier
	s_cbranch_scc1 .LBB7_79
; %bb.47:                               ;   in Loop: Header=BB7_12 Depth=1
	s_mul_i32 s29, s15, s28
	v_add_u32_e32 v2, s29, v1
	v_mul_lo_u32 v17, s15, v2
	v_add_u32_e32 v2, s29, v7
	v_mul_lo_u32 v18, s15, v2
	;; [unrolled: 2-line block ×3, first 2 shown]
	v_add_u32_e32 v2, s29, v13
	s_ashr_i32 s29, s28, 31
	s_lshl_b64 s[42:43], s[28:29], 2
	s_add_u32 s42, s6, s42
	v_mul_lo_u32 v20, s15, v2
	s_addc_u32 s43, s7, s43
	v_mov_b32_e32 v21, v0
	s_branch .LBB7_49
.LBB7_48:                               ;   in Loop: Header=BB7_49 Depth=2
	s_add_i32 s28, s28, 1
	s_add_u32 s42, s42, 4
	s_addc_u32 s43, s43, 0
	s_cmp_ge_i32 s28, s13
	v_add_u32_e32 v21, s17, v21
	s_cselect_b64 s[44:45], -1, 0
	s_andn2_b64 vcc, exec, s[44:45]
	s_mov_b32 s25, s29
	s_cbranch_vccz .LBB7_80
.LBB7_49:                               ;   Parent Loop BB7_12 Depth=1
                                        ; =>  This Inner Loop Header: Depth=2
	s_load_dword s29, s[42:43], 0x0
	s_mov_b64 s[46:47], -1
	s_waitcnt lgkmcnt(0)
	s_sub_i32 s33, s29, s9
	s_cmp_eq_u32 s33, s5
	s_cselect_b64 s[44:45], -1, 0
	s_cmp_lg_u32 s33, s5
                                        ; implicit-def: $sgpr29
	s_cbranch_scc1 .LBB7_52
; %bb.50:                               ;   in Loop: Header=BB7_49 Depth=2
	s_andn2_b64 vcc, exec, s[46:47]
	s_cbranch_vccz .LBB7_53
.LBB7_51:                               ;   in Loop: Header=BB7_49 Depth=2
	s_andn2_b64 vcc, exec, s[44:45]
	s_cbranch_vccz .LBB7_48
	s_branch .LBB7_74
.LBB7_52:                               ;   in Loop: Header=BB7_49 Depth=2
	s_min_i32 s29, s33, s25
	s_cbranch_execnz .LBB7_51
.LBB7_53:                               ;   in Loop: Header=BB7_49 Depth=2
	s_mul_i32 s29, s28, s15
	v_add_u32_e32 v2, s29, v0
	v_mul_lo_u32 v22, v2, s15
	ds_write_b32 v3, v16 offset:4096
	s_and_saveexec_b64 s[46:47], s[34:35]
	s_cbranch_execnz .LBB7_57
; %bb.54:                               ;   in Loop: Header=BB7_49 Depth=2
	s_or_b64 exec, exec, s[46:47]
	s_and_saveexec_b64 s[46:47], s[36:37]
	s_cbranch_execnz .LBB7_61
.LBB7_55:                               ;   in Loop: Header=BB7_49 Depth=2
	s_or_b64 exec, exec, s[46:47]
	s_and_saveexec_b64 s[46:47], s[38:39]
	s_cbranch_execnz .LBB7_65
.LBB7_56:                               ;   in Loop: Header=BB7_49 Depth=2
	s_or_b64 exec, exec, s[46:47]
	s_and_saveexec_b64 s[46:47], s[40:41]
	s_cbranch_execnz .LBB7_69
	s_branch .LBB7_73
.LBB7_57:                               ;   in Loop: Header=BB7_49 Depth=2
	s_and_b64 vcc, exec, s[30:31]
	s_cbranch_vccz .LBB7_75
; %bb.58:                               ;   in Loop: Header=BB7_49 Depth=2
	v_add_u32_e32 v2, v17, v21
	v_mov_b32_e32 v23, v6
	s_cbranch_execnz .LBB7_60
.LBB7_59:                               ;   in Loop: Header=BB7_49 Depth=2
	v_add_u32_e32 v2, v22, v1
	v_mov_b32_e32 v23, v4
.LBB7_60:                               ;   in Loop: Header=BB7_49 Depth=2
	v_lshlrev_b64 v[24:25], 2, v[2:3]
	v_mov_b32_e32 v2, s27
	v_add_co_u32_e32 v24, vcc, s26, v24
	v_addc_co_u32_e32 v25, vcc, v2, v25, vcc
	global_load_dword v2, v[24:25], off
	v_lshlrev_b32_e32 v23, 2, v23
	ds_read_b32 v24, v23
	s_waitcnt vmcnt(0) lgkmcnt(0)
	v_fmac_f32_e32 v24, s16, v2
	ds_write_b32 v23, v24
	s_or_b64 exec, exec, s[46:47]
	s_and_saveexec_b64 s[46:47], s[36:37]
	s_cbranch_execz .LBB7_55
.LBB7_61:                               ;   in Loop: Header=BB7_49 Depth=2
	s_and_b64 vcc, exec, s[0:1]
	s_cbranch_vccnz .LBB7_76
; %bb.62:                               ;   in Loop: Header=BB7_49 Depth=2
	v_add_u32_e32 v2, v18, v21
	v_mov_b32_e32 v23, v8
	s_cbranch_execnz .LBB7_64
.LBB7_63:                               ;   in Loop: Header=BB7_49 Depth=2
	v_add_u32_e32 v2, v22, v7
	v_mov_b32_e32 v23, v9
.LBB7_64:                               ;   in Loop: Header=BB7_49 Depth=2
	v_lshlrev_b64 v[24:25], 2, v[2:3]
	v_mov_b32_e32 v2, s27
	v_add_co_u32_e32 v24, vcc, s26, v24
	v_addc_co_u32_e32 v25, vcc, v2, v25, vcc
	global_load_dword v2, v[24:25], off
	v_lshlrev_b32_e32 v23, 2, v23
	ds_read_b32 v24, v23
	s_waitcnt vmcnt(0) lgkmcnt(0)
	v_fmac_f32_e32 v24, s16, v2
	ds_write_b32 v23, v24
	s_or_b64 exec, exec, s[46:47]
	s_and_saveexec_b64 s[46:47], s[38:39]
	s_cbranch_execz .LBB7_56
.LBB7_65:                               ;   in Loop: Header=BB7_49 Depth=2
	s_and_b64 vcc, exec, s[0:1]
	s_cbranch_vccnz .LBB7_77
; %bb.66:                               ;   in Loop: Header=BB7_49 Depth=2
	v_add_u32_e32 v2, v19, v21
	v_mov_b32_e32 v23, v11
	s_cbranch_execnz .LBB7_68
.LBB7_67:                               ;   in Loop: Header=BB7_49 Depth=2
	v_add_u32_e32 v2, v22, v10
	v_mov_b32_e32 v23, v12
.LBB7_68:                               ;   in Loop: Header=BB7_49 Depth=2
	v_lshlrev_b64 v[24:25], 2, v[2:3]
	v_mov_b32_e32 v2, s27
	v_add_co_u32_e32 v24, vcc, s26, v24
	v_addc_co_u32_e32 v25, vcc, v2, v25, vcc
	global_load_dword v2, v[24:25], off
	v_lshlrev_b32_e32 v23, 2, v23
	ds_read_b32 v24, v23
	s_waitcnt vmcnt(0) lgkmcnt(0)
	v_fmac_f32_e32 v24, s16, v2
	ds_write_b32 v23, v24
	s_or_b64 exec, exec, s[46:47]
	s_and_saveexec_b64 s[46:47], s[40:41]
	s_cbranch_execz .LBB7_73
.LBB7_69:                               ;   in Loop: Header=BB7_49 Depth=2
	s_and_b64 vcc, exec, s[0:1]
	s_cbranch_vccnz .LBB7_78
; %bb.70:                               ;   in Loop: Header=BB7_49 Depth=2
	v_add_u32_e32 v2, v20, v21
	v_mov_b32_e32 v23, v14
	s_cbranch_execnz .LBB7_72
.LBB7_71:                               ;   in Loop: Header=BB7_49 Depth=2
	v_add_u32_e32 v2, v22, v13
	v_mov_b32_e32 v23, v15
.LBB7_72:                               ;   in Loop: Header=BB7_49 Depth=2
	v_lshlrev_b64 v[24:25], 2, v[2:3]
	v_mov_b32_e32 v2, s27
	v_add_co_u32_e32 v24, vcc, s26, v24
	v_addc_co_u32_e32 v25, vcc, v2, v25, vcc
	global_load_dword v2, v[24:25], off
	v_lshlrev_b32_e32 v22, 2, v23
	ds_read_b32 v23, v22
	s_waitcnt vmcnt(0) lgkmcnt(0)
	v_fmac_f32_e32 v23, s16, v2
	ds_write_b32 v22, v23
.LBB7_73:                               ;   in Loop: Header=BB7_49 Depth=2
	s_or_b64 exec, exec, s[46:47]
	s_mov_b32 s29, s25
	s_andn2_b64 vcc, exec, s[44:45]
	s_cbranch_vccz .LBB7_48
.LBB7_74:                               ;   in Loop: Header=BB7_12 Depth=1
                                        ; implicit-def: $vgpr21
                                        ; implicit-def: $sgpr42_sgpr43
	s_mov_b32 s25, s29
	s_branch .LBB7_80
.LBB7_75:                               ;   in Loop: Header=BB7_49 Depth=2
	v_mov_b32_e32 v23, v6
	s_branch .LBB7_59
.LBB7_76:                               ;   in Loop: Header=BB7_49 Depth=2
	v_mov_b32_e32 v23, v8
	s_branch .LBB7_63
.LBB7_77:                               ;   in Loop: Header=BB7_49 Depth=2
	v_mov_b32_e32 v23, v11
	s_branch .LBB7_67
.LBB7_78:                               ;   in Loop: Header=BB7_49 Depth=2
	v_mov_b32_e32 v23, v14
	s_branch .LBB7_71
.LBB7_79:                               ;   in Loop: Header=BB7_12 Depth=1
	s_mov_b32 s29, s25
.LBB7_80:                               ;   in Loop: Header=BB7_12 Depth=1
	s_waitcnt lgkmcnt(0)
	s_barrier
	ds_read_b32 v2, v3 offset:4096
	s_waitcnt lgkmcnt(0)
	v_cmp_eq_u32_e32 vcc, 0, v2
	s_cbranch_vccnz .LBB7_11
; %bb.81:                               ;   in Loop: Header=BB7_12 Depth=1
	s_add_i32 s25, s5, s10
	s_ashr_i32 s5, s4, 31
	s_lshl_b64 s[42:43], s[4:5], 2
	s_add_u32 s42, s20, s42
	s_addc_u32 s43, s21, s43
	v_mov_b32_e32 v2, s25
	s_mul_i32 s5, s4, s15
	global_store_dword v3, v2, s[42:43]
	v_add_u32_e32 v2, s5, v0
	v_mul_lo_u32 v17, v2, s15
	s_and_saveexec_b64 s[42:43], s[34:35]
	s_cbranch_execnz .LBB7_85
; %bb.82:                               ;   in Loop: Header=BB7_12 Depth=1
	s_or_b64 exec, exec, s[42:43]
	s_and_saveexec_b64 s[42:43], s[36:37]
	s_cbranch_execnz .LBB7_89
.LBB7_83:                               ;   in Loop: Header=BB7_12 Depth=1
	s_or_b64 exec, exec, s[42:43]
	s_and_saveexec_b64 s[42:43], s[38:39]
	s_cbranch_execnz .LBB7_93
.LBB7_84:                               ;   in Loop: Header=BB7_12 Depth=1
	s_or_b64 exec, exec, s[42:43]
	s_and_saveexec_b64 s[42:43], s[40:41]
	s_cbranch_execz .LBB7_10
	s_branch .LBB7_97
.LBB7_85:                               ;   in Loop: Header=BB7_12 Depth=1
	s_and_b64 vcc, exec, s[30:31]
	s_cbranch_vccz .LBB7_99
; %bb.86:                               ;   in Loop: Header=BB7_12 Depth=1
	v_add_u32_e32 v2, s5, v1
	v_mad_u64_u32 v[18:19], s[44:45], v2, s15, v[0:1]
	v_mov_b32_e32 v2, v18
	v_mov_b32_e32 v18, v6
	s_cbranch_execnz .LBB7_88
.LBB7_87:                               ;   in Loop: Header=BB7_12 Depth=1
	v_add_u32_e32 v2, v17, v1
	v_mov_b32_e32 v18, v4
.LBB7_88:                               ;   in Loop: Header=BB7_12 Depth=1
	v_lshlrev_b32_e32 v18, 2, v18
	ds_read_b32 v20, v18
	v_lshlrev_b64 v[18:19], 2, v[2:3]
	v_mov_b32_e32 v2, s23
	v_add_co_u32_e32 v18, vcc, s22, v18
	v_addc_co_u32_e32 v19, vcc, v2, v19, vcc
	s_waitcnt lgkmcnt(0)
	global_store_dword v[18:19], v20, off
	s_or_b64 exec, exec, s[42:43]
	s_and_saveexec_b64 s[42:43], s[36:37]
	s_cbranch_execz .LBB7_83
.LBB7_89:                               ;   in Loop: Header=BB7_12 Depth=1
	s_and_b64 vcc, exec, s[0:1]
	s_cbranch_vccnz .LBB7_100
; %bb.90:                               ;   in Loop: Header=BB7_12 Depth=1
	v_add_u32_e32 v2, s5, v7
	v_mad_u64_u32 v[18:19], s[44:45], v2, s15, v[0:1]
	v_mov_b32_e32 v2, v18
	v_mov_b32_e32 v18, v8
	s_cbranch_execnz .LBB7_92
.LBB7_91:                               ;   in Loop: Header=BB7_12 Depth=1
	v_add_u32_e32 v2, v17, v7
	v_mov_b32_e32 v18, v9
.LBB7_92:                               ;   in Loop: Header=BB7_12 Depth=1
	v_lshlrev_b32_e32 v18, 2, v18
	ds_read_b32 v20, v18
	v_lshlrev_b64 v[18:19], 2, v[2:3]
	v_mov_b32_e32 v2, s23
	v_add_co_u32_e32 v18, vcc, s22, v18
	v_addc_co_u32_e32 v19, vcc, v2, v19, vcc
	s_waitcnt lgkmcnt(0)
	global_store_dword v[18:19], v20, off
	s_or_b64 exec, exec, s[42:43]
	s_and_saveexec_b64 s[42:43], s[38:39]
	s_cbranch_execz .LBB7_84
.LBB7_93:                               ;   in Loop: Header=BB7_12 Depth=1
	s_and_b64 vcc, exec, s[0:1]
	s_cbranch_vccnz .LBB7_101
; %bb.94:                               ;   in Loop: Header=BB7_12 Depth=1
	v_add_u32_e32 v2, s5, v10
	v_mad_u64_u32 v[18:19], s[44:45], v2, s15, v[0:1]
	v_mov_b32_e32 v2, v18
	v_mov_b32_e32 v18, v11
	s_cbranch_execnz .LBB7_96
.LBB7_95:                               ;   in Loop: Header=BB7_12 Depth=1
	v_add_u32_e32 v2, v17, v10
	v_mov_b32_e32 v18, v12
.LBB7_96:                               ;   in Loop: Header=BB7_12 Depth=1
	v_lshlrev_b32_e32 v18, 2, v18
	ds_read_b32 v20, v18
	v_lshlrev_b64 v[18:19], 2, v[2:3]
	v_mov_b32_e32 v2, s23
	v_add_co_u32_e32 v18, vcc, s22, v18
	v_addc_co_u32_e32 v19, vcc, v2, v19, vcc
	s_waitcnt lgkmcnt(0)
	global_store_dword v[18:19], v20, off
	s_or_b64 exec, exec, s[42:43]
	s_and_saveexec_b64 s[42:43], s[40:41]
	s_cbranch_execz .LBB7_10
.LBB7_97:                               ;   in Loop: Header=BB7_12 Depth=1
	s_and_b64 vcc, exec, s[0:1]
	s_cbranch_vccnz .LBB7_102
; %bb.98:                               ;   in Loop: Header=BB7_12 Depth=1
	v_add_u32_e32 v2, s5, v13
	v_mad_u64_u32 v[18:19], s[44:45], v2, s15, v[0:1]
	v_mov_b32_e32 v2, v18
	v_mov_b32_e32 v18, v14
	s_cbranch_execnz .LBB7_9
	s_branch .LBB7_103
.LBB7_99:                               ;   in Loop: Header=BB7_12 Depth=1
	v_mov_b32_e32 v18, v6
	s_branch .LBB7_87
.LBB7_100:                              ;   in Loop: Header=BB7_12 Depth=1
	v_mov_b32_e32 v18, v8
	s_branch .LBB7_91
.LBB7_101:                              ;   in Loop: Header=BB7_12 Depth=1
	v_mov_b32_e32 v18, v11
	s_branch .LBB7_95
.LBB7_102:                              ;   in Loop: Header=BB7_12 Depth=1
	v_mov_b32_e32 v18, v14
.LBB7_103:                              ;   in Loop: Header=BB7_12 Depth=1
	v_add_u32_e32 v2, v17, v13
	v_mov_b32_e32 v18, v15
	s_branch .LBB7_9
.LBB7_104:
	s_endpgm
	.section	.rodata,"a",@progbits
	.p2align	6, 0x0
	.amdhsa_kernel _ZN9rocsparseL39bsrgeam_block_per_row_multipass_kernel2ILj256ELj32EfEEv20rocsparse_direction_iiiNS_24const_host_device_scalarIT1_EEPKiS6_PKS3_S4_S6_S6_S8_S6_PiPS3_21rocsparse_index_base_SB_SB_b
		.amdhsa_group_segment_fixed_size 4100
		.amdhsa_private_segment_fixed_size 0
		.amdhsa_kernarg_size 120
		.amdhsa_user_sgpr_count 6
		.amdhsa_user_sgpr_private_segment_buffer 1
		.amdhsa_user_sgpr_dispatch_ptr 0
		.amdhsa_user_sgpr_queue_ptr 0
		.amdhsa_user_sgpr_kernarg_segment_ptr 1
		.amdhsa_user_sgpr_dispatch_id 0
		.amdhsa_user_sgpr_flat_scratch_init 0
		.amdhsa_user_sgpr_kernarg_preload_length 0
		.amdhsa_user_sgpr_kernarg_preload_offset 0
		.amdhsa_user_sgpr_private_segment_size 0
		.amdhsa_uses_dynamic_stack 0
		.amdhsa_system_sgpr_private_segment_wavefront_offset 0
		.amdhsa_system_sgpr_workgroup_id_x 1
		.amdhsa_system_sgpr_workgroup_id_y 0
		.amdhsa_system_sgpr_workgroup_id_z 0
		.amdhsa_system_sgpr_workgroup_info 0
		.amdhsa_system_vgpr_workitem_id 0
		.amdhsa_next_free_vgpr 26
		.amdhsa_next_free_sgpr 48
		.amdhsa_accum_offset 28
		.amdhsa_reserve_vcc 1
		.amdhsa_reserve_flat_scratch 0
		.amdhsa_float_round_mode_32 0
		.amdhsa_float_round_mode_16_64 0
		.amdhsa_float_denorm_mode_32 3
		.amdhsa_float_denorm_mode_16_64 3
		.amdhsa_dx10_clamp 1
		.amdhsa_ieee_mode 1
		.amdhsa_fp16_overflow 0
		.amdhsa_tg_split 0
		.amdhsa_exception_fp_ieee_invalid_op 0
		.amdhsa_exception_fp_denorm_src 0
		.amdhsa_exception_fp_ieee_div_zero 0
		.amdhsa_exception_fp_ieee_overflow 0
		.amdhsa_exception_fp_ieee_underflow 0
		.amdhsa_exception_fp_ieee_inexact 0
		.amdhsa_exception_int_div_zero 0
	.end_amdhsa_kernel
	.section	.text._ZN9rocsparseL39bsrgeam_block_per_row_multipass_kernel2ILj256ELj32EfEEv20rocsparse_direction_iiiNS_24const_host_device_scalarIT1_EEPKiS6_PKS3_S4_S6_S6_S8_S6_PiPS3_21rocsparse_index_base_SB_SB_b,"axG",@progbits,_ZN9rocsparseL39bsrgeam_block_per_row_multipass_kernel2ILj256ELj32EfEEv20rocsparse_direction_iiiNS_24const_host_device_scalarIT1_EEPKiS6_PKS3_S4_S6_S6_S8_S6_PiPS3_21rocsparse_index_base_SB_SB_b,comdat
.Lfunc_end7:
	.size	_ZN9rocsparseL39bsrgeam_block_per_row_multipass_kernel2ILj256ELj32EfEEv20rocsparse_direction_iiiNS_24const_host_device_scalarIT1_EEPKiS6_PKS3_S4_S6_S6_S8_S6_PiPS3_21rocsparse_index_base_SB_SB_b, .Lfunc_end7-_ZN9rocsparseL39bsrgeam_block_per_row_multipass_kernel2ILj256ELj32EfEEv20rocsparse_direction_iiiNS_24const_host_device_scalarIT1_EEPKiS6_PKS3_S4_S6_S6_S8_S6_PiPS3_21rocsparse_index_base_SB_SB_b
                                        ; -- End function
	.section	.AMDGPU.csdata,"",@progbits
; Kernel info:
; codeLenInByte = 2456
; NumSgprs: 52
; NumVgprs: 26
; NumAgprs: 0
; TotalNumVgprs: 26
; ScratchSize: 0
; MemoryBound: 0
; FloatMode: 240
; IeeeMode: 1
; LDSByteSize: 4100 bytes/workgroup (compile time only)
; SGPRBlocks: 6
; VGPRBlocks: 3
; NumSGPRsForWavesPerEU: 52
; NumVGPRsForWavesPerEU: 26
; AccumOffset: 28
; Occupancy: 8
; WaveLimiterHint : 1
; COMPUTE_PGM_RSRC2:SCRATCH_EN: 0
; COMPUTE_PGM_RSRC2:USER_SGPR: 6
; COMPUTE_PGM_RSRC2:TRAP_HANDLER: 0
; COMPUTE_PGM_RSRC2:TGID_X_EN: 1
; COMPUTE_PGM_RSRC2:TGID_Y_EN: 0
; COMPUTE_PGM_RSRC2:TGID_Z_EN: 0
; COMPUTE_PGM_RSRC2:TIDIG_COMP_CNT: 0
; COMPUTE_PGM_RSRC3_GFX90A:ACCUM_OFFSET: 6
; COMPUTE_PGM_RSRC3_GFX90A:TG_SPLIT: 0
	.section	.text._ZN9rocsparseL39bsrgeam_wf_per_row_multipass_2_3_kernelILj256ELj2ELj32EdEEv20rocsparse_direction_iiiNS_24const_host_device_scalarIT2_EEPKiS6_PKS3_S4_S6_S6_S8_S6_PiPS3_21rocsparse_index_base_SB_SB_b,"axG",@progbits,_ZN9rocsparseL39bsrgeam_wf_per_row_multipass_2_3_kernelILj256ELj2ELj32EdEEv20rocsparse_direction_iiiNS_24const_host_device_scalarIT2_EEPKiS6_PKS3_S4_S6_S6_S8_S6_PiPS3_21rocsparse_index_base_SB_SB_b,comdat
	.globl	_ZN9rocsparseL39bsrgeam_wf_per_row_multipass_2_3_kernelILj256ELj2ELj32EdEEv20rocsparse_direction_iiiNS_24const_host_device_scalarIT2_EEPKiS6_PKS3_S4_S6_S6_S8_S6_PiPS3_21rocsparse_index_base_SB_SB_b ; -- Begin function _ZN9rocsparseL39bsrgeam_wf_per_row_multipass_2_3_kernelILj256ELj2ELj32EdEEv20rocsparse_direction_iiiNS_24const_host_device_scalarIT2_EEPKiS6_PKS3_S4_S6_S6_S8_S6_PiPS3_21rocsparse_index_base_SB_SB_b
	.p2align	8
	.type	_ZN9rocsparseL39bsrgeam_wf_per_row_multipass_2_3_kernelILj256ELj2ELj32EdEEv20rocsparse_direction_iiiNS_24const_host_device_scalarIT2_EEPKiS6_PKS3_S4_S6_S6_S8_S6_PiPS3_21rocsparse_index_base_SB_SB_b,@function
_ZN9rocsparseL39bsrgeam_wf_per_row_multipass_2_3_kernelILj256ELj2ELj32EdEEv20rocsparse_direction_iiiNS_24const_host_device_scalarIT2_EEPKiS6_PKS3_S4_S6_S6_S8_S6_PiPS3_21rocsparse_index_base_SB_SB_b: ; @_ZN9rocsparseL39bsrgeam_wf_per_row_multipass_2_3_kernelILj256ELj2ELj32EdEEv20rocsparse_direction_iiiNS_24const_host_device_scalarIT2_EEPKiS6_PKS3_S4_S6_S6_S8_S6_PiPS3_21rocsparse_index_base_SB_SB_b
; %bb.0:
	s_load_dwordx4 s[8:11], s[4:5], 0x68
	s_load_dwordx2 s[12:13], s[4:5], 0x10
	s_load_dwordx2 s[0:1], s[4:5], 0x30
	s_waitcnt lgkmcnt(0)
	s_bitcmp1_b32 s11, 0
	s_cselect_b64 s[14:15], -1, 0
	s_xor_b64 s[2:3], s[14:15], -1
	s_and_b64 vcc, exec, s[14:15]
	v_pk_mov_b32 v[8:9], s[12:13], s[12:13] op_sel:[0,1]
	s_cbranch_vccnz .LBB8_2
; %bb.1:
	v_pk_mov_b32 v[2:3], s[12:13], s[12:13] op_sel:[0,1]
	flat_load_dwordx2 v[8:9], v[2:3]
.LBB8_2:
	s_andn2_b64 vcc, exec, s[2:3]
	v_pk_mov_b32 v[10:11], s[0:1], s[0:1] op_sel:[0,1]
	s_cbranch_vccnz .LBB8_4
; %bb.3:
	v_pk_mov_b32 v[2:3], s[0:1], s[0:1] op_sel:[0,1]
	flat_load_dwordx2 v[10:11], v[2:3]
.LBB8_4:
	s_load_dwordx4 s[12:15], s[4:5], 0x0
	s_lshl_b32 s0, s6, 3
	v_lshrrev_b32_e32 v1, 5, v0
	s_and_b32 s0, s0, 0x7fffff8
	v_or_b32_e32 v2, s0, v1
	s_waitcnt lgkmcnt(0)
	v_cmp_gt_i32_e32 vcc, s13, v2
	s_and_saveexec_b64 s[0:1], vcc
	s_cbranch_execz .LBB8_39
; %bb.5:
	s_load_dwordx4 s[16:19], s[4:5], 0x18
	s_load_dwordx4 s[20:23], s[4:5], 0x38
	s_load_dwordx2 s[0:1], s[4:5], 0x50
	v_lshlrev_b32_e32 v6, 2, v2
	s_waitcnt lgkmcnt(0)
	global_load_dwordx2 v[2:3], v6, s[16:17]
	global_load_dwordx2 v[4:5], v6, s[20:21]
	global_load_dword v12, v6, s[0:1]
	s_waitcnt vmcnt(0)
	v_subrev_u32_e32 v6, s8, v2
	v_cmp_lt_i32_e32 vcc, v2, v3
	v_mov_b32_e32 v2, s14
	s_and_saveexec_b64 s[0:1], vcc
	s_cbranch_execz .LBB8_7
; %bb.6:
	v_ashrrev_i32_e32 v7, 31, v6
	v_lshlrev_b64 v[14:15], 2, v[6:7]
	v_mov_b32_e32 v2, s19
	v_add_co_u32_e32 v14, vcc, s18, v14
	v_addc_co_u32_e32 v15, vcc, v2, v15, vcc
	global_load_dword v2, v[14:15], off
	s_waitcnt vmcnt(0)
	v_subrev_u32_e32 v2, s8, v2
.LBB8_7:
	s_or_b64 exec, exec, s[0:1]
	s_load_dwordx4 s[24:27], s[4:5], 0x58
	s_load_dwordx2 s[6:7], s[4:5], 0x28
	s_load_dwordx2 s[16:17], s[4:5], 0x48
	v_subrev_u32_e32 v14, s9, v4
	v_cmp_lt_i32_e32 vcc, v4, v5
	v_mov_b32_e32 v4, s14
	s_and_saveexec_b64 s[0:1], vcc
	s_cbranch_execz .LBB8_9
; %bb.8:
	v_ashrrev_i32_e32 v15, 31, v14
	v_lshlrev_b64 v[16:17], 2, v[14:15]
	v_mov_b32_e32 v4, s23
	v_add_co_u32_e32 v16, vcc, s22, v16
	v_addc_co_u32_e32 v17, vcc, v4, v17, vcc
	global_load_dword v4, v[16:17], off
	s_waitcnt vmcnt(0)
	v_subrev_u32_e32 v4, s9, v4
.LBB8_9:
	s_or_b64 exec, exec, s[0:1]
	v_lshlrev_b32_e32 v21, 10, v1
	v_mbcnt_lo_u32_b32 v1, -1, 0
	v_and_b32_e32 v7, 0xe0, v0
	v_and_b32_e32 v0, 31, v0
	v_mbcnt_hi_u32_b32 v1, -1, v1
	v_subrev_u32_e32 v22, s8, v3
	v_min_i32_e32 v35, v4, v2
	v_and_b32_e32 v2, 64, v1
	v_xor_b32_e32 v3, 31, v0
	v_add_u32_e32 v2, 64, v2
	v_lshrrev_b32_e64 v25, v3, -1
	v_xor_b32_e32 v3, 16, v1
	v_cmp_lt_i32_e32 vcc, v3, v2
	v_cndmask_b32_e32 v3, v1, v3, vcc
	v_lshlrev_b32_e32 v27, 2, v3
	v_xor_b32_e32 v3, 8, v1
	v_cmp_lt_i32_e32 vcc, v3, v2
	v_cndmask_b32_e32 v3, v1, v3, vcc
	v_lshlrev_b32_e32 v29, 2, v3
	;; [unrolled: 4-line block ×4, first 2 shown]
	v_xor_b32_e32 v3, 1, v1
	s_mov_b32 s0, 0
	s_cmp_lg_u32 s12, 0
	v_cmp_lt_i32_e32 vcc, v3, v2
	v_or_b32_e32 v20, 0x2000, v7
	s_cselect_b64 s[20:21], -1, 0
	v_cndmask_b32_e32 v1, v1, v3, vcc
	s_mov_b32 s1, s0
	v_subrev_u32_e32 v24, s10, v12
	v_add_u32_e32 v12, v6, v0
	v_add_u32_e32 v14, v14, v0
	s_cmp_eq_u32 s12, 0
	v_add_u32_e32 v26, s10, v0
	v_lshl_or_b32 v28, v0, 5, v21
	v_lshlrev_b32_e32 v32, 2, v1
	v_add_u32_e32 v33, v20, v0
	s_mov_b32 s2, s0
	s_mov_b32 s3, s0
	v_pk_mov_b32 v[0:1], s[0:1], s[0:1] op_sel:[0,1]
	v_cndmask_b32_e64 v4, 0, 1, s[20:21]
	v_subrev_u32_e32 v23, s9, v5
	v_mov_b32_e32 v17, 0
	s_cselect_b32 s15, 8, 16
	s_cselect_b32 s30, 16, 8
	s_mov_b64 s[4:5], 0
	v_pk_mov_b32 v[2:3], s[2:3], s[2:3] op_sel:[0,1]
	v_cmp_ne_u32_e64 s[0:1], 1, v4
	v_mov_b32_e32 v34, 1
	s_branch .LBB8_11
.LBB8_10:                               ;   in Loop: Header=BB8_11 Depth=1
	s_or_b64 exec, exec, s[10:11]
	ds_bpermute_b32 v4, v27, v36
	s_bcnt1_i32_b64 s2, vcc
	v_add_u32_e32 v24, s2, v24
	s_waitcnt lgkmcnt(0)
	v_min_i32_e32 v4, v4, v36
	ds_bpermute_b32 v5, v29, v4
	s_waitcnt lgkmcnt(0)
	v_min_i32_e32 v4, v5, v4
	ds_bpermute_b32 v5, v30, v4
	;; [unrolled: 3-line block ×4, first 2 shown]
	s_waitcnt lgkmcnt(0)
	v_min_i32_e32 v35, v5, v4
	v_cmp_le_i32_e32 vcc, s14, v35
	s_or_b64 s[4:5], vcc, s[4:5]
	s_andn2_b64 exec, exec, s[4:5]
	s_cbranch_execz .LBB8_39
.LBB8_11:                               ; =>This Loop Header: Depth=1
                                        ;     Child Loop BB8_14 Depth 2
                                        ;     Child Loop BB8_27 Depth 2
	v_cmp_lt_i32_e32 vcc, v12, v22
	v_mov_b32_e32 v36, s14
	ds_write_b8 v33, v17
	ds_write_b128 v28, v[0:3]
	ds_write_b128 v28, v[0:3] offset:16
	s_waitcnt lgkmcnt(0)
	s_and_saveexec_b64 s[10:11], vcc
	s_cbranch_execz .LBB8_24
; %bb.12:                               ;   in Loop: Header=BB8_11 Depth=1
	v_lshlrev_b32_e32 v16, 2, v12
	s_mov_b64 s[12:13], 0
	v_mov_b32_e32 v36, s14
	s_branch .LBB8_14
.LBB8_13:                               ;   in Loop: Header=BB8_14 Depth=2
	s_or_b64 exec, exec, s[28:29]
	s_and_b64 s[2:3], exec, s[20:21]
	s_or_b64 s[12:13], s[2:3], s[12:13]
	s_andn2_b64 exec, exec, s[12:13]
	s_cbranch_execz .LBB8_23
.LBB8_14:                               ;   Parent Loop BB8_11 Depth=1
                                        ; =>  This Inner Loop Header: Depth=2
	v_ashrrev_i32_e32 v13, 31, v12
	v_lshlrev_b64 v[4:5], 2, v[12:13]
	v_mov_b32_e32 v6, s19
	v_add_co_u32_e32 v4, vcc, s18, v4
	v_addc_co_u32_e32 v5, vcc, v6, v5, vcc
	global_load_dword v4, v[4:5], off
	s_waitcnt vmcnt(0)
	v_subrev_u32_e32 v4, s8, v4
	v_sub_u32_e32 v6, v4, v35
	v_cmp_gt_u32_e64 s[2:3], 32, v6
	v_cmp_lt_u32_e32 vcc, 31, v6
	s_and_saveexec_b64 s[20:21], vcc
	s_xor_b64 s[20:21], exec, s[20:21]
; %bb.15:                               ;   in Loop: Header=BB8_14 Depth=2
	v_min_i32_e32 v36, v4, v36
                                        ; implicit-def: $vgpr6
; %bb.16:                               ;   in Loop: Header=BB8_14 Depth=2
	s_andn2_saveexec_b64 s[20:21], s[20:21]
	s_cbranch_execz .LBB8_21
; %bb.17:                               ;   in Loop: Header=BB8_14 Depth=2
	v_lshlrev_b64 v[4:5], 3, v[16:17]
	v_mov_b32_e32 v7, s7
	v_add_co_u32_e32 v4, vcc, s6, v4
	v_addc_co_u32_e32 v5, vcc, v7, v5, vcc
	global_load_dwordx2 v[18:19], v[4:5], off
	v_add_u32_e32 v7, v20, v6
	v_lshlrev_b32_e32 v6, 5, v6
	v_add_u32_e32 v6, v21, v6
	s_and_b64 vcc, exec, s[0:1]
	ds_write_b8 v7, v34
	s_waitcnt vmcnt(0)
	v_mul_f64 v[18:19], v[8:9], v[18:19]
	ds_write_b64 v6, v[18:19]
	s_cbranch_vccnz .LBB8_19
; %bb.18:                               ;   in Loop: Header=BB8_14 Depth=2
	global_load_dwordx4 v[38:41], v[4:5], off offset:8
	global_load_dwordx2 v[18:19], v[4:5], off offset:24
	s_waitcnt vmcnt(1)
	v_mul_f64 v[40:41], v[8:9], v[40:41]
	v_mul_f64 v[38:39], v[8:9], v[38:39]
	s_waitcnt vmcnt(0)
	v_mul_f64 v[18:19], v[8:9], v[18:19]
	ds_write2_b64 v6, v[40:41], v[38:39] offset0:1 offset1:2
	ds_write_b64 v6, v[18:19] offset:24
	s_cbranch_execz .LBB8_20
	s_branch .LBB8_21
.LBB8_19:                               ;   in Loop: Header=BB8_14 Depth=2
.LBB8_20:                               ;   in Loop: Header=BB8_14 Depth=2
	global_load_dwordx4 v[38:41], v[4:5], off offset:8
	global_load_dwordx2 v[18:19], v[4:5], off offset:24
	s_waitcnt vmcnt(1)
	v_mul_f64 v[4:5], v[8:9], v[38:39]
	v_mul_f64 v[38:39], v[8:9], v[40:41]
	s_waitcnt vmcnt(0)
	v_mul_f64 v[18:19], v[8:9], v[18:19]
	ds_write2_b64 v6, v[4:5], v[38:39] offset0:1 offset1:2
	ds_write_b64 v6, v[18:19] offset:24
.LBB8_21:                               ;   in Loop: Header=BB8_14 Depth=2
	s_or_b64 exec, exec, s[20:21]
	s_mov_b64 s[20:21], -1
	s_and_saveexec_b64 s[28:29], s[2:3]
	s_cbranch_execz .LBB8_13
; %bb.22:                               ;   in Loop: Header=BB8_14 Depth=2
	v_add_u32_e32 v12, 32, v12
	v_cmp_ge_i32_e32 vcc, v12, v22
	v_add_u32_e32 v16, 0x80, v16
	s_orn2_b64 s[20:21], vcc, exec
	s_branch .LBB8_13
.LBB8_23:                               ;   in Loop: Header=BB8_11 Depth=1
	s_or_b64 exec, exec, s[12:13]
.LBB8_24:                               ;   in Loop: Header=BB8_11 Depth=1
	s_or_b64 exec, exec, s[10:11]
	v_cmp_lt_i32_e32 vcc, v14, v23
	s_waitcnt lgkmcnt(0)
	s_and_saveexec_b64 s[10:11], vcc
	s_cbranch_execz .LBB8_37
; %bb.25:                               ;   in Loop: Header=BB8_11 Depth=1
	v_lshlrev_b32_e32 v16, 2, v14
	s_mov_b64 s[12:13], 0
	s_branch .LBB8_27
.LBB8_26:                               ;   in Loop: Header=BB8_27 Depth=2
	s_or_b64 exec, exec, s[28:29]
	s_and_b64 s[2:3], exec, s[20:21]
	s_or_b64 s[12:13], s[2:3], s[12:13]
	s_andn2_b64 exec, exec, s[12:13]
	s_cbranch_execz .LBB8_36
.LBB8_27:                               ;   Parent Loop BB8_11 Depth=1
                                        ; =>  This Inner Loop Header: Depth=2
	v_ashrrev_i32_e32 v15, 31, v14
	v_lshlrev_b64 v[4:5], 2, v[14:15]
	v_mov_b32_e32 v6, s23
	v_add_co_u32_e32 v4, vcc, s22, v4
	v_addc_co_u32_e32 v5, vcc, v6, v5, vcc
	global_load_dword v4, v[4:5], off
	s_waitcnt vmcnt(0)
	v_subrev_u32_e32 v4, s9, v4
	v_sub_u32_e32 v15, v4, v35
	v_cmp_gt_u32_e64 s[2:3], 32, v15
	v_cmp_lt_u32_e32 vcc, 31, v15
	s_and_saveexec_b64 s[20:21], vcc
	s_xor_b64 s[20:21], exec, s[20:21]
; %bb.28:                               ;   in Loop: Header=BB8_27 Depth=2
	v_min_i32_e32 v36, v4, v36
                                        ; implicit-def: $vgpr15
; %bb.29:                               ;   in Loop: Header=BB8_27 Depth=2
	s_andn2_saveexec_b64 s[20:21], s[20:21]
	s_cbranch_execz .LBB8_34
; %bb.30:                               ;   in Loop: Header=BB8_27 Depth=2
	v_lshlrev_b64 v[4:5], 3, v[16:17]
	v_mov_b32_e32 v6, s17
	v_add_co_u32_e32 v18, vcc, s16, v4
	v_addc_co_u32_e32 v19, vcc, v6, v5, vcc
	global_load_dwordx2 v[38:39], v[18:19], off
	v_lshlrev_b32_e32 v4, 5, v15
	v_add_u32_e32 v13, v21, v4
	ds_read_b128 v[4:7], v13
	v_add_u32_e32 v15, v20, v15
	s_and_b64 vcc, exec, s[0:1]
	ds_write_b8 v15, v34
	s_waitcnt vmcnt(0) lgkmcnt(1)
	v_fmac_f64_e32 v[4:5], v[10:11], v[38:39]
	ds_write_b64 v13, v[4:5]
	s_cbranch_vccnz .LBB8_32
; %bb.31:                               ;   in Loop: Header=BB8_27 Depth=2
	global_load_dwordx4 v[38:41], v[18:19], off offset:8
	global_load_dwordx2 v[4:5], v[18:19], off offset:24
	ds_read_b128 v[42:45], v13 offset:16
	s_waitcnt vmcnt(1) lgkmcnt(0)
	v_fmac_f64_e32 v[42:43], v[10:11], v[38:39]
	s_waitcnt vmcnt(0)
	v_fmac_f64_e32 v[44:45], v[10:11], v[4:5]
	v_fma_f64 v[40:41], v[10:11], v[40:41], v[6:7]
	v_mov_b32_e32 v4, v42
	v_mov_b32_e32 v5, v43
	ds_write_b64 v13, v[44:45] offset:24
	ds_write2_b64 v13, v[40:41], v[4:5] offset0:1 offset1:2
	s_cbranch_execz .LBB8_33
	s_branch .LBB8_34
.LBB8_32:                               ;   in Loop: Header=BB8_27 Depth=2
.LBB8_33:                               ;   in Loop: Header=BB8_27 Depth=2
	global_load_dwordx4 v[38:41], v[18:19], off offset:8
	global_load_dwordx2 v[4:5], v[18:19], off offset:24
	ds_read_b128 v[42:45], v13 offset:16
	s_waitcnt vmcnt(1)
	v_fmac_f64_e32 v[6:7], v[10:11], v[38:39]
	s_waitcnt lgkmcnt(0)
	v_fmac_f64_e32 v[42:43], v[10:11], v[40:41]
	s_waitcnt vmcnt(0)
	v_fmac_f64_e32 v[44:45], v[10:11], v[4:5]
	v_mov_b32_e32 v4, v6
	v_mov_b32_e32 v5, v7
	;; [unrolled: 1-line block ×4, first 2 shown]
	ds_write2_b64 v13, v[4:5], v[6:7] offset0:1 offset1:2
	ds_write_b64 v13, v[44:45] offset:24
.LBB8_34:                               ;   in Loop: Header=BB8_27 Depth=2
	s_or_b64 exec, exec, s[20:21]
	s_mov_b64 s[20:21], -1
	s_and_saveexec_b64 s[28:29], s[2:3]
	s_cbranch_execz .LBB8_26
; %bb.35:                               ;   in Loop: Header=BB8_27 Depth=2
	v_add_u32_e32 v14, 32, v14
	v_cmp_ge_i32_e32 vcc, v14, v23
	v_add_u32_e32 v16, 0x80, v16
	s_orn2_b64 s[20:21], vcc, exec
	s_branch .LBB8_26
.LBB8_36:                               ;   in Loop: Header=BB8_11 Depth=1
	s_or_b64 exec, exec, s[12:13]
.LBB8_37:                               ;   in Loop: Header=BB8_11 Depth=1
	s_or_b64 exec, exec, s[10:11]
	s_waitcnt lgkmcnt(0)
	ds_read_u8 v4, v33
	s_waitcnt lgkmcnt(0)
	v_and_b32_e32 v5, 1, v4
	v_cmp_eq_u32_e64 s[2:3], 1, v5
	v_cmp_ne_u16_e32 vcc, 0, v4
	s_and_saveexec_b64 s[10:11], s[2:3]
	s_cbranch_execz .LBB8_10
; %bb.38:                               ;   in Loop: Header=BB8_11 Depth=1
	v_and_b32_e32 v4, vcc_lo, v25
	v_bcnt_u32_b32 v4, v4, 0
	v_add3_u32 v18, v24, v4, -1
	v_ashrrev_i32_e32 v19, 31, v18
	v_lshlrev_b64 v[4:5], 2, v[18:19]
	v_mov_b32_e32 v7, s25
	v_add_co_u32_e64 v4, s[2:3], s24, v4
	v_add_u32_e32 v6, v26, v35
	v_addc_co_u32_e64 v5, s[2:3], v7, v5, s[2:3]
	global_store_dword v[4:5], v6, off
	ds_read2_b64 v[4:7], v28 offset1:3
	v_add_u32_e32 v15, s15, v28
	v_lshlrev_b32_e32 v16, 2, v18
	v_lshlrev_b64 v[18:19], 3, v[16:17]
	v_mov_b32_e32 v13, s27
	s_waitcnt lgkmcnt(0)
	v_mov_b32_e32 v38, v4
	v_add_u32_e32 v4, s30, v28
	v_mov_b32_e32 v39, v5
	ds_read_b64 v[40:41], v15
	ds_read_b64 v[4:5], v4
	v_add_co_u32_e64 v18, s[2:3], s26, v18
	v_addc_co_u32_e64 v19, s[2:3], v13, v19, s[2:3]
	s_waitcnt lgkmcnt(1)
	global_store_dwordx4 v[18:19], v[38:41], off
	s_waitcnt lgkmcnt(0)
	global_store_dwordx4 v[18:19], v[4:7], off offset:16
	s_branch .LBB8_10
.LBB8_39:
	s_endpgm
	.section	.rodata,"a",@progbits
	.p2align	6, 0x0
	.amdhsa_kernel _ZN9rocsparseL39bsrgeam_wf_per_row_multipass_2_3_kernelILj256ELj2ELj32EdEEv20rocsparse_direction_iiiNS_24const_host_device_scalarIT2_EEPKiS6_PKS3_S4_S6_S6_S8_S6_PiPS3_21rocsparse_index_base_SB_SB_b
		.amdhsa_group_segment_fixed_size 8448
		.amdhsa_private_segment_fixed_size 0
		.amdhsa_kernarg_size 120
		.amdhsa_user_sgpr_count 6
		.amdhsa_user_sgpr_private_segment_buffer 1
		.amdhsa_user_sgpr_dispatch_ptr 0
		.amdhsa_user_sgpr_queue_ptr 0
		.amdhsa_user_sgpr_kernarg_segment_ptr 1
		.amdhsa_user_sgpr_dispatch_id 0
		.amdhsa_user_sgpr_flat_scratch_init 0
		.amdhsa_user_sgpr_kernarg_preload_length 0
		.amdhsa_user_sgpr_kernarg_preload_offset 0
		.amdhsa_user_sgpr_private_segment_size 0
		.amdhsa_uses_dynamic_stack 0
		.amdhsa_system_sgpr_private_segment_wavefront_offset 0
		.amdhsa_system_sgpr_workgroup_id_x 1
		.amdhsa_system_sgpr_workgroup_id_y 0
		.amdhsa_system_sgpr_workgroup_id_z 0
		.amdhsa_system_sgpr_workgroup_info 0
		.amdhsa_system_vgpr_workitem_id 0
		.amdhsa_next_free_vgpr 46
		.amdhsa_next_free_sgpr 31
		.amdhsa_accum_offset 48
		.amdhsa_reserve_vcc 1
		.amdhsa_reserve_flat_scratch 0
		.amdhsa_float_round_mode_32 0
		.amdhsa_float_round_mode_16_64 0
		.amdhsa_float_denorm_mode_32 3
		.amdhsa_float_denorm_mode_16_64 3
		.amdhsa_dx10_clamp 1
		.amdhsa_ieee_mode 1
		.amdhsa_fp16_overflow 0
		.amdhsa_tg_split 0
		.amdhsa_exception_fp_ieee_invalid_op 0
		.amdhsa_exception_fp_denorm_src 0
		.amdhsa_exception_fp_ieee_div_zero 0
		.amdhsa_exception_fp_ieee_overflow 0
		.amdhsa_exception_fp_ieee_underflow 0
		.amdhsa_exception_fp_ieee_inexact 0
		.amdhsa_exception_int_div_zero 0
	.end_amdhsa_kernel
	.section	.text._ZN9rocsparseL39bsrgeam_wf_per_row_multipass_2_3_kernelILj256ELj2ELj32EdEEv20rocsparse_direction_iiiNS_24const_host_device_scalarIT2_EEPKiS6_PKS3_S4_S6_S6_S8_S6_PiPS3_21rocsparse_index_base_SB_SB_b,"axG",@progbits,_ZN9rocsparseL39bsrgeam_wf_per_row_multipass_2_3_kernelILj256ELj2ELj32EdEEv20rocsparse_direction_iiiNS_24const_host_device_scalarIT2_EEPKiS6_PKS3_S4_S6_S6_S8_S6_PiPS3_21rocsparse_index_base_SB_SB_b,comdat
.Lfunc_end8:
	.size	_ZN9rocsparseL39bsrgeam_wf_per_row_multipass_2_3_kernelILj256ELj2ELj32EdEEv20rocsparse_direction_iiiNS_24const_host_device_scalarIT2_EEPKiS6_PKS3_S4_S6_S6_S8_S6_PiPS3_21rocsparse_index_base_SB_SB_b, .Lfunc_end8-_ZN9rocsparseL39bsrgeam_wf_per_row_multipass_2_3_kernelILj256ELj2ELj32EdEEv20rocsparse_direction_iiiNS_24const_host_device_scalarIT2_EEPKiS6_PKS3_S4_S6_S6_S8_S6_PiPS3_21rocsparse_index_base_SB_SB_b
                                        ; -- End function
	.section	.AMDGPU.csdata,"",@progbits
; Kernel info:
; codeLenInByte = 1772
; NumSgprs: 35
; NumVgprs: 46
; NumAgprs: 0
; TotalNumVgprs: 46
; ScratchSize: 0
; MemoryBound: 0
; FloatMode: 240
; IeeeMode: 1
; LDSByteSize: 8448 bytes/workgroup (compile time only)
; SGPRBlocks: 4
; VGPRBlocks: 5
; NumSGPRsForWavesPerEU: 35
; NumVGPRsForWavesPerEU: 46
; AccumOffset: 48
; Occupancy: 7
; WaveLimiterHint : 1
; COMPUTE_PGM_RSRC2:SCRATCH_EN: 0
; COMPUTE_PGM_RSRC2:USER_SGPR: 6
; COMPUTE_PGM_RSRC2:TRAP_HANDLER: 0
; COMPUTE_PGM_RSRC2:TGID_X_EN: 1
; COMPUTE_PGM_RSRC2:TGID_Y_EN: 0
; COMPUTE_PGM_RSRC2:TGID_Z_EN: 0
; COMPUTE_PGM_RSRC2:TIDIG_COMP_CNT: 0
; COMPUTE_PGM_RSRC3_GFX90A:ACCUM_OFFSET: 11
; COMPUTE_PGM_RSRC3_GFX90A:TG_SPLIT: 0
	.section	.text._ZN9rocsparseL39bsrgeam_wf_per_row_multipass_2_3_kernelILj256ELj2ELj64EdEEv20rocsparse_direction_iiiNS_24const_host_device_scalarIT2_EEPKiS6_PKS3_S4_S6_S6_S8_S6_PiPS3_21rocsparse_index_base_SB_SB_b,"axG",@progbits,_ZN9rocsparseL39bsrgeam_wf_per_row_multipass_2_3_kernelILj256ELj2ELj64EdEEv20rocsparse_direction_iiiNS_24const_host_device_scalarIT2_EEPKiS6_PKS3_S4_S6_S6_S8_S6_PiPS3_21rocsparse_index_base_SB_SB_b,comdat
	.globl	_ZN9rocsparseL39bsrgeam_wf_per_row_multipass_2_3_kernelILj256ELj2ELj64EdEEv20rocsparse_direction_iiiNS_24const_host_device_scalarIT2_EEPKiS6_PKS3_S4_S6_S6_S8_S6_PiPS3_21rocsparse_index_base_SB_SB_b ; -- Begin function _ZN9rocsparseL39bsrgeam_wf_per_row_multipass_2_3_kernelILj256ELj2ELj64EdEEv20rocsparse_direction_iiiNS_24const_host_device_scalarIT2_EEPKiS6_PKS3_S4_S6_S6_S8_S6_PiPS3_21rocsparse_index_base_SB_SB_b
	.p2align	8
	.type	_ZN9rocsparseL39bsrgeam_wf_per_row_multipass_2_3_kernelILj256ELj2ELj64EdEEv20rocsparse_direction_iiiNS_24const_host_device_scalarIT2_EEPKiS6_PKS3_S4_S6_S6_S8_S6_PiPS3_21rocsparse_index_base_SB_SB_b,@function
_ZN9rocsparseL39bsrgeam_wf_per_row_multipass_2_3_kernelILj256ELj2ELj64EdEEv20rocsparse_direction_iiiNS_24const_host_device_scalarIT2_EEPKiS6_PKS3_S4_S6_S6_S8_S6_PiPS3_21rocsparse_index_base_SB_SB_b: ; @_ZN9rocsparseL39bsrgeam_wf_per_row_multipass_2_3_kernelILj256ELj2ELj64EdEEv20rocsparse_direction_iiiNS_24const_host_device_scalarIT2_EEPKiS6_PKS3_S4_S6_S6_S8_S6_PiPS3_21rocsparse_index_base_SB_SB_b
; %bb.0:
	s_load_dwordx4 s[8:11], s[4:5], 0x68
	s_load_dwordx2 s[12:13], s[4:5], 0x10
	s_load_dwordx2 s[0:1], s[4:5], 0x30
	s_waitcnt lgkmcnt(0)
	s_bitcmp1_b32 s11, 0
	s_cselect_b64 s[14:15], -1, 0
	s_xor_b64 s[2:3], s[14:15], -1
	s_and_b64 vcc, exec, s[14:15]
	v_pk_mov_b32 v[8:9], s[12:13], s[12:13] op_sel:[0,1]
	s_cbranch_vccnz .LBB9_2
; %bb.1:
	v_pk_mov_b32 v[2:3], s[12:13], s[12:13] op_sel:[0,1]
	flat_load_dwordx2 v[8:9], v[2:3]
.LBB9_2:
	s_andn2_b64 vcc, exec, s[2:3]
	v_pk_mov_b32 v[10:11], s[0:1], s[0:1] op_sel:[0,1]
	s_cbranch_vccnz .LBB9_4
; %bb.3:
	v_pk_mov_b32 v[2:3], s[0:1], s[0:1] op_sel:[0,1]
	flat_load_dwordx2 v[10:11], v[2:3]
.LBB9_4:
	s_load_dwordx4 s[12:15], s[4:5], 0x0
	s_lshl_b32 s0, s6, 2
	v_lshrrev_b32_e32 v1, 6, v0
	s_and_b32 s0, s0, 0x3fffffc
	v_or_b32_e32 v2, s0, v1
	s_waitcnt lgkmcnt(0)
	v_cmp_gt_i32_e32 vcc, s13, v2
	s_and_saveexec_b64 s[0:1], vcc
	s_cbranch_execz .LBB9_39
; %bb.5:
	s_load_dwordx4 s[16:19], s[4:5], 0x18
	s_load_dwordx4 s[20:23], s[4:5], 0x38
	s_load_dwordx2 s[0:1], s[4:5], 0x50
	v_lshlrev_b32_e32 v6, 2, v2
	s_waitcnt lgkmcnt(0)
	global_load_dwordx2 v[2:3], v6, s[16:17]
	global_load_dwordx2 v[4:5], v6, s[20:21]
	global_load_dword v12, v6, s[0:1]
	s_waitcnt vmcnt(0)
	v_subrev_u32_e32 v6, s8, v2
	v_cmp_lt_i32_e32 vcc, v2, v3
	v_mov_b32_e32 v2, s14
	s_and_saveexec_b64 s[0:1], vcc
	s_cbranch_execz .LBB9_7
; %bb.6:
	v_ashrrev_i32_e32 v7, 31, v6
	v_lshlrev_b64 v[14:15], 2, v[6:7]
	v_mov_b32_e32 v2, s19
	v_add_co_u32_e32 v14, vcc, s18, v14
	v_addc_co_u32_e32 v15, vcc, v2, v15, vcc
	global_load_dword v2, v[14:15], off
	s_waitcnt vmcnt(0)
	v_subrev_u32_e32 v2, s8, v2
.LBB9_7:
	s_or_b64 exec, exec, s[0:1]
	s_load_dwordx4 s[24:27], s[4:5], 0x58
	s_load_dwordx2 s[6:7], s[4:5], 0x28
	s_load_dwordx2 s[16:17], s[4:5], 0x48
	v_subrev_u32_e32 v14, s9, v4
	v_cmp_lt_i32_e32 vcc, v4, v5
	v_mov_b32_e32 v4, s14
	s_and_saveexec_b64 s[0:1], vcc
	s_cbranch_execz .LBB9_9
; %bb.8:
	v_ashrrev_i32_e32 v15, 31, v14
	v_lshlrev_b64 v[16:17], 2, v[14:15]
	v_mov_b32_e32 v4, s23
	v_add_co_u32_e32 v16, vcc, s22, v16
	v_addc_co_u32_e32 v17, vcc, v4, v17, vcc
	global_load_dword v4, v[16:17], off
	s_waitcnt vmcnt(0)
	v_subrev_u32_e32 v4, s9, v4
.LBB9_9:
	s_or_b64 exec, exec, s[0:1]
	v_lshlrev_b32_e32 v23, 11, v1
	v_mbcnt_lo_u32_b32 v1, -1, 0
	v_and_b32_e32 v7, 0xc0, v0
	v_and_b32_e32 v0, 63, v0
	v_mbcnt_hi_u32_b32 v1, -1, v1
	v_subrev_u32_e32 v24, s8, v3
	v_min_i32_e32 v37, v4, v2
	v_and_b32_e32 v2, 64, v1
	v_xor_b32_e32 v3, 63, v0
	v_add_u32_e32 v2, 64, v2
	v_lshrrev_b64 v[18:19], v3, -1
	v_xor_b32_e32 v3, 32, v1
	v_cmp_lt_i32_e32 vcc, v3, v2
	v_cndmask_b32_e32 v3, v1, v3, vcc
	v_lshlrev_b32_e32 v28, 2, v3
	v_xor_b32_e32 v3, 16, v1
	v_cmp_lt_i32_e32 vcc, v3, v2
	v_cndmask_b32_e32 v3, v1, v3, vcc
	v_lshlrev_b32_e32 v30, 2, v3
	;; [unrolled: 4-line block ×5, first 2 shown]
	v_xor_b32_e32 v3, 1, v1
	s_mov_b32 s0, 0
	s_cmp_lg_u32 s12, 0
	v_cmp_lt_i32_e32 vcc, v3, v2
	v_or_b32_e32 v22, 0x2000, v7
	s_cselect_b64 s[20:21], -1, 0
	v_cndmask_b32_e32 v1, v1, v3, vcc
	s_mov_b32 s1, s0
	v_subrev_u32_e32 v26, s10, v12
	v_add_u32_e32 v12, v6, v0
	v_add_u32_e32 v14, v14, v0
	s_cmp_eq_u32 s12, 0
	v_add_u32_e32 v27, s10, v0
	v_lshl_or_b32 v29, v0, 5, v23
	v_lshlrev_b32_e32 v34, 2, v1
	v_add_u32_e32 v35, v22, v0
	s_mov_b32 s2, s0
	s_mov_b32 s3, s0
	v_pk_mov_b32 v[0:1], s[0:1], s[0:1] op_sel:[0,1]
	v_cndmask_b32_e64 v4, 0, 1, s[20:21]
	v_subrev_u32_e32 v25, s9, v5
	v_mov_b32_e32 v17, 0
	s_cselect_b32 s15, 8, 16
	s_cselect_b32 s30, 16, 8
	s_mov_b64 s[4:5], 0
	v_pk_mov_b32 v[2:3], s[2:3], s[2:3] op_sel:[0,1]
	v_cmp_ne_u32_e64 s[0:1], 1, v4
	v_mov_b32_e32 v36, 1
	s_branch .LBB9_11
.LBB9_10:                               ;   in Loop: Header=BB9_11 Depth=1
	s_or_b64 exec, exec, s[10:11]
	ds_bpermute_b32 v4, v28, v38
	s_bcnt1_i32_b64 s2, vcc
	v_add_u32_e32 v26, s2, v26
	s_waitcnt lgkmcnt(0)
	v_min_i32_e32 v4, v4, v38
	ds_bpermute_b32 v5, v30, v4
	s_waitcnt lgkmcnt(0)
	v_min_i32_e32 v4, v5, v4
	ds_bpermute_b32 v5, v31, v4
	s_waitcnt lgkmcnt(0)
	v_min_i32_e32 v4, v5, v4
	ds_bpermute_b32 v5, v32, v4
	s_waitcnt lgkmcnt(0)
	v_min_i32_e32 v4, v5, v4
	ds_bpermute_b32 v5, v33, v4
	s_waitcnt lgkmcnt(0)
	v_min_i32_e32 v4, v5, v4
	ds_bpermute_b32 v5, v34, v4
	s_waitcnt lgkmcnt(0)
	v_min_i32_e32 v37, v5, v4
	v_cmp_le_i32_e32 vcc, s14, v37
	s_or_b64 s[4:5], vcc, s[4:5]
	s_andn2_b64 exec, exec, s[4:5]
	s_cbranch_execz .LBB9_39
.LBB9_11:                               ; =>This Loop Header: Depth=1
                                        ;     Child Loop BB9_14 Depth 2
                                        ;     Child Loop BB9_27 Depth 2
	v_cmp_lt_i32_e32 vcc, v12, v24
	v_mov_b32_e32 v38, s14
	ds_write_b8 v35, v17
	ds_write_b128 v29, v[0:3]
	ds_write_b128 v29, v[0:3] offset:16
	s_waitcnt lgkmcnt(0)
	s_and_saveexec_b64 s[10:11], vcc
	s_cbranch_execz .LBB9_24
; %bb.12:                               ;   in Loop: Header=BB9_11 Depth=1
	v_lshlrev_b32_e32 v16, 2, v12
	s_mov_b64 s[12:13], 0
	v_mov_b32_e32 v38, s14
	s_branch .LBB9_14
.LBB9_13:                               ;   in Loop: Header=BB9_14 Depth=2
	s_or_b64 exec, exec, s[28:29]
	s_and_b64 s[2:3], exec, s[20:21]
	s_or_b64 s[12:13], s[2:3], s[12:13]
	s_andn2_b64 exec, exec, s[12:13]
	s_cbranch_execz .LBB9_23
.LBB9_14:                               ;   Parent Loop BB9_11 Depth=1
                                        ; =>  This Inner Loop Header: Depth=2
	v_ashrrev_i32_e32 v13, 31, v12
	v_lshlrev_b64 v[4:5], 2, v[12:13]
	v_mov_b32_e32 v6, s19
	v_add_co_u32_e32 v4, vcc, s18, v4
	v_addc_co_u32_e32 v5, vcc, v6, v5, vcc
	global_load_dword v4, v[4:5], off
	s_waitcnt vmcnt(0)
	v_subrev_u32_e32 v4, s8, v4
	v_sub_u32_e32 v6, v4, v37
	v_cmp_gt_u32_e64 s[2:3], 64, v6
	v_cmp_lt_u32_e32 vcc, 63, v6
	s_and_saveexec_b64 s[20:21], vcc
	s_xor_b64 s[20:21], exec, s[20:21]
; %bb.15:                               ;   in Loop: Header=BB9_14 Depth=2
	v_min_i32_e32 v38, v4, v38
                                        ; implicit-def: $vgpr6
; %bb.16:                               ;   in Loop: Header=BB9_14 Depth=2
	s_andn2_saveexec_b64 s[20:21], s[20:21]
	s_cbranch_execz .LBB9_21
; %bb.17:                               ;   in Loop: Header=BB9_14 Depth=2
	v_lshlrev_b64 v[4:5], 3, v[16:17]
	v_mov_b32_e32 v7, s7
	v_add_co_u32_e32 v4, vcc, s6, v4
	v_addc_co_u32_e32 v5, vcc, v7, v5, vcc
	global_load_dwordx2 v[20:21], v[4:5], off
	v_add_u32_e32 v7, v22, v6
	v_lshlrev_b32_e32 v6, 5, v6
	v_add_u32_e32 v6, v23, v6
	s_and_b64 vcc, exec, s[0:1]
	ds_write_b8 v7, v36
	s_waitcnt vmcnt(0)
	v_mul_f64 v[20:21], v[8:9], v[20:21]
	ds_write_b64 v6, v[20:21]
	s_cbranch_vccnz .LBB9_19
; %bb.18:                               ;   in Loop: Header=BB9_14 Depth=2
	global_load_dwordx4 v[40:43], v[4:5], off offset:8
	global_load_dwordx2 v[20:21], v[4:5], off offset:24
	s_waitcnt vmcnt(1)
	v_mul_f64 v[42:43], v[8:9], v[42:43]
	v_mul_f64 v[40:41], v[8:9], v[40:41]
	s_waitcnt vmcnt(0)
	v_mul_f64 v[20:21], v[8:9], v[20:21]
	ds_write2_b64 v6, v[42:43], v[40:41] offset0:1 offset1:2
	ds_write_b64 v6, v[20:21] offset:24
	s_cbranch_execz .LBB9_20
	s_branch .LBB9_21
.LBB9_19:                               ;   in Loop: Header=BB9_14 Depth=2
.LBB9_20:                               ;   in Loop: Header=BB9_14 Depth=2
	global_load_dwordx4 v[40:43], v[4:5], off offset:8
	global_load_dwordx2 v[20:21], v[4:5], off offset:24
	s_waitcnt vmcnt(1)
	v_mul_f64 v[4:5], v[8:9], v[40:41]
	v_mul_f64 v[40:41], v[8:9], v[42:43]
	s_waitcnt vmcnt(0)
	v_mul_f64 v[20:21], v[8:9], v[20:21]
	ds_write2_b64 v6, v[4:5], v[40:41] offset0:1 offset1:2
	ds_write_b64 v6, v[20:21] offset:24
.LBB9_21:                               ;   in Loop: Header=BB9_14 Depth=2
	s_or_b64 exec, exec, s[20:21]
	s_mov_b64 s[20:21], -1
	s_and_saveexec_b64 s[28:29], s[2:3]
	s_cbranch_execz .LBB9_13
; %bb.22:                               ;   in Loop: Header=BB9_14 Depth=2
	v_add_u32_e32 v12, 64, v12
	v_cmp_ge_i32_e32 vcc, v12, v24
	v_add_u32_e32 v16, 0x100, v16
	s_orn2_b64 s[20:21], vcc, exec
	s_branch .LBB9_13
.LBB9_23:                               ;   in Loop: Header=BB9_11 Depth=1
	s_or_b64 exec, exec, s[12:13]
.LBB9_24:                               ;   in Loop: Header=BB9_11 Depth=1
	s_or_b64 exec, exec, s[10:11]
	v_cmp_lt_i32_e32 vcc, v14, v25
	s_waitcnt lgkmcnt(0)
	s_and_saveexec_b64 s[10:11], vcc
	s_cbranch_execz .LBB9_37
; %bb.25:                               ;   in Loop: Header=BB9_11 Depth=1
	v_lshlrev_b32_e32 v16, 2, v14
	s_mov_b64 s[12:13], 0
	s_branch .LBB9_27
.LBB9_26:                               ;   in Loop: Header=BB9_27 Depth=2
	s_or_b64 exec, exec, s[28:29]
	s_and_b64 s[2:3], exec, s[20:21]
	s_or_b64 s[12:13], s[2:3], s[12:13]
	s_andn2_b64 exec, exec, s[12:13]
	s_cbranch_execz .LBB9_36
.LBB9_27:                               ;   Parent Loop BB9_11 Depth=1
                                        ; =>  This Inner Loop Header: Depth=2
	v_ashrrev_i32_e32 v15, 31, v14
	v_lshlrev_b64 v[4:5], 2, v[14:15]
	v_mov_b32_e32 v6, s23
	v_add_co_u32_e32 v4, vcc, s22, v4
	v_addc_co_u32_e32 v5, vcc, v6, v5, vcc
	global_load_dword v4, v[4:5], off
	s_waitcnt vmcnt(0)
	v_subrev_u32_e32 v4, s9, v4
	v_sub_u32_e32 v15, v4, v37
	v_cmp_gt_u32_e64 s[2:3], 64, v15
	v_cmp_lt_u32_e32 vcc, 63, v15
	s_and_saveexec_b64 s[20:21], vcc
	s_xor_b64 s[20:21], exec, s[20:21]
; %bb.28:                               ;   in Loop: Header=BB9_27 Depth=2
	v_min_i32_e32 v38, v4, v38
                                        ; implicit-def: $vgpr15
; %bb.29:                               ;   in Loop: Header=BB9_27 Depth=2
	s_andn2_saveexec_b64 s[20:21], s[20:21]
	s_cbranch_execz .LBB9_34
; %bb.30:                               ;   in Loop: Header=BB9_27 Depth=2
	v_lshlrev_b64 v[4:5], 3, v[16:17]
	v_mov_b32_e32 v6, s17
	v_add_co_u32_e32 v20, vcc, s16, v4
	v_addc_co_u32_e32 v21, vcc, v6, v5, vcc
	global_load_dwordx2 v[40:41], v[20:21], off
	v_lshlrev_b32_e32 v4, 5, v15
	v_add_u32_e32 v13, v23, v4
	ds_read_b128 v[4:7], v13
	v_add_u32_e32 v15, v22, v15
	s_and_b64 vcc, exec, s[0:1]
	ds_write_b8 v15, v36
	s_waitcnt vmcnt(0) lgkmcnt(1)
	v_fmac_f64_e32 v[4:5], v[10:11], v[40:41]
	ds_write_b64 v13, v[4:5]
	s_cbranch_vccnz .LBB9_32
; %bb.31:                               ;   in Loop: Header=BB9_27 Depth=2
	global_load_dwordx4 v[40:43], v[20:21], off offset:8
	global_load_dwordx2 v[4:5], v[20:21], off offset:24
	ds_read_b128 v[44:47], v13 offset:16
	s_waitcnt vmcnt(1) lgkmcnt(0)
	v_fmac_f64_e32 v[44:45], v[10:11], v[40:41]
	s_waitcnt vmcnt(0)
	v_fmac_f64_e32 v[46:47], v[10:11], v[4:5]
	v_fma_f64 v[42:43], v[10:11], v[42:43], v[6:7]
	v_mov_b32_e32 v4, v44
	v_mov_b32_e32 v5, v45
	ds_write_b64 v13, v[46:47] offset:24
	ds_write2_b64 v13, v[42:43], v[4:5] offset0:1 offset1:2
	s_cbranch_execz .LBB9_33
	s_branch .LBB9_34
.LBB9_32:                               ;   in Loop: Header=BB9_27 Depth=2
.LBB9_33:                               ;   in Loop: Header=BB9_27 Depth=2
	global_load_dwordx4 v[40:43], v[20:21], off offset:8
	global_load_dwordx2 v[4:5], v[20:21], off offset:24
	ds_read_b128 v[44:47], v13 offset:16
	s_waitcnt vmcnt(1)
	v_fmac_f64_e32 v[6:7], v[10:11], v[40:41]
	s_waitcnt lgkmcnt(0)
	v_fmac_f64_e32 v[44:45], v[10:11], v[42:43]
	s_waitcnt vmcnt(0)
	v_fmac_f64_e32 v[46:47], v[10:11], v[4:5]
	v_mov_b32_e32 v4, v6
	v_mov_b32_e32 v5, v7
	;; [unrolled: 1-line block ×4, first 2 shown]
	ds_write2_b64 v13, v[4:5], v[6:7] offset0:1 offset1:2
	ds_write_b64 v13, v[46:47] offset:24
.LBB9_34:                               ;   in Loop: Header=BB9_27 Depth=2
	s_or_b64 exec, exec, s[20:21]
	s_mov_b64 s[20:21], -1
	s_and_saveexec_b64 s[28:29], s[2:3]
	s_cbranch_execz .LBB9_26
; %bb.35:                               ;   in Loop: Header=BB9_27 Depth=2
	v_add_u32_e32 v14, 64, v14
	v_cmp_ge_i32_e32 vcc, v14, v25
	v_add_u32_e32 v16, 0x100, v16
	s_orn2_b64 s[20:21], vcc, exec
	s_branch .LBB9_26
.LBB9_36:                               ;   in Loop: Header=BB9_11 Depth=1
	s_or_b64 exec, exec, s[12:13]
.LBB9_37:                               ;   in Loop: Header=BB9_11 Depth=1
	s_or_b64 exec, exec, s[10:11]
	s_waitcnt lgkmcnt(0)
	ds_read_u8 v4, v35
	s_waitcnt lgkmcnt(0)
	v_and_b32_e32 v5, 1, v4
	v_cmp_eq_u32_e64 s[2:3], 1, v5
	v_cmp_ne_u16_e32 vcc, 0, v4
	s_and_saveexec_b64 s[10:11], s[2:3]
	s_cbranch_execz .LBB9_10
; %bb.38:                               ;   in Loop: Header=BB9_11 Depth=1
	v_and_b32_e32 v5, vcc_lo, v18
	v_and_b32_e32 v4, vcc_hi, v19
	v_bcnt_u32_b32 v5, v5, 0
	v_bcnt_u32_b32 v4, v4, v5
	v_add3_u32 v20, v26, v4, -1
	v_ashrrev_i32_e32 v21, 31, v20
	v_lshlrev_b64 v[4:5], 2, v[20:21]
	v_mov_b32_e32 v7, s25
	v_add_co_u32_e64 v4, s[2:3], s24, v4
	v_add_u32_e32 v6, v27, v37
	v_addc_co_u32_e64 v5, s[2:3], v7, v5, s[2:3]
	global_store_dword v[4:5], v6, off
	ds_read2_b64 v[4:7], v29 offset1:3
	v_add_u32_e32 v15, s15, v29
	v_lshlrev_b32_e32 v16, 2, v20
	v_lshlrev_b64 v[20:21], 3, v[16:17]
	v_mov_b32_e32 v13, s27
	s_waitcnt lgkmcnt(0)
	v_mov_b32_e32 v40, v4
	v_add_u32_e32 v4, s30, v29
	v_mov_b32_e32 v41, v5
	ds_read_b64 v[42:43], v15
	ds_read_b64 v[4:5], v4
	v_add_co_u32_e64 v20, s[2:3], s26, v20
	v_addc_co_u32_e64 v21, s[2:3], v13, v21, s[2:3]
	s_waitcnt lgkmcnt(1)
	global_store_dwordx4 v[20:21], v[40:43], off
	s_waitcnt lgkmcnt(0)
	global_store_dwordx4 v[20:21], v[4:7], off offset:16
	s_branch .LBB9_10
.LBB9_39:
	s_endpgm
	.section	.rodata,"a",@progbits
	.p2align	6, 0x0
	.amdhsa_kernel _ZN9rocsparseL39bsrgeam_wf_per_row_multipass_2_3_kernelILj256ELj2ELj64EdEEv20rocsparse_direction_iiiNS_24const_host_device_scalarIT2_EEPKiS6_PKS3_S4_S6_S6_S8_S6_PiPS3_21rocsparse_index_base_SB_SB_b
		.amdhsa_group_segment_fixed_size 8448
		.amdhsa_private_segment_fixed_size 0
		.amdhsa_kernarg_size 120
		.amdhsa_user_sgpr_count 6
		.amdhsa_user_sgpr_private_segment_buffer 1
		.amdhsa_user_sgpr_dispatch_ptr 0
		.amdhsa_user_sgpr_queue_ptr 0
		.amdhsa_user_sgpr_kernarg_segment_ptr 1
		.amdhsa_user_sgpr_dispatch_id 0
		.amdhsa_user_sgpr_flat_scratch_init 0
		.amdhsa_user_sgpr_kernarg_preload_length 0
		.amdhsa_user_sgpr_kernarg_preload_offset 0
		.amdhsa_user_sgpr_private_segment_size 0
		.amdhsa_uses_dynamic_stack 0
		.amdhsa_system_sgpr_private_segment_wavefront_offset 0
		.amdhsa_system_sgpr_workgroup_id_x 1
		.amdhsa_system_sgpr_workgroup_id_y 0
		.amdhsa_system_sgpr_workgroup_id_z 0
		.amdhsa_system_sgpr_workgroup_info 0
		.amdhsa_system_vgpr_workitem_id 0
		.amdhsa_next_free_vgpr 48
		.amdhsa_next_free_sgpr 31
		.amdhsa_accum_offset 48
		.amdhsa_reserve_vcc 1
		.amdhsa_reserve_flat_scratch 0
		.amdhsa_float_round_mode_32 0
		.amdhsa_float_round_mode_16_64 0
		.amdhsa_float_denorm_mode_32 3
		.amdhsa_float_denorm_mode_16_64 3
		.amdhsa_dx10_clamp 1
		.amdhsa_ieee_mode 1
		.amdhsa_fp16_overflow 0
		.amdhsa_tg_split 0
		.amdhsa_exception_fp_ieee_invalid_op 0
		.amdhsa_exception_fp_denorm_src 0
		.amdhsa_exception_fp_ieee_div_zero 0
		.amdhsa_exception_fp_ieee_overflow 0
		.amdhsa_exception_fp_ieee_underflow 0
		.amdhsa_exception_fp_ieee_inexact 0
		.amdhsa_exception_int_div_zero 0
	.end_amdhsa_kernel
	.section	.text._ZN9rocsparseL39bsrgeam_wf_per_row_multipass_2_3_kernelILj256ELj2ELj64EdEEv20rocsparse_direction_iiiNS_24const_host_device_scalarIT2_EEPKiS6_PKS3_S4_S6_S6_S8_S6_PiPS3_21rocsparse_index_base_SB_SB_b,"axG",@progbits,_ZN9rocsparseL39bsrgeam_wf_per_row_multipass_2_3_kernelILj256ELj2ELj64EdEEv20rocsparse_direction_iiiNS_24const_host_device_scalarIT2_EEPKiS6_PKS3_S4_S6_S6_S8_S6_PiPS3_21rocsparse_index_base_SB_SB_b,comdat
.Lfunc_end9:
	.size	_ZN9rocsparseL39bsrgeam_wf_per_row_multipass_2_3_kernelILj256ELj2ELj64EdEEv20rocsparse_direction_iiiNS_24const_host_device_scalarIT2_EEPKiS6_PKS3_S4_S6_S6_S8_S6_PiPS3_21rocsparse_index_base_SB_SB_b, .Lfunc_end9-_ZN9rocsparseL39bsrgeam_wf_per_row_multipass_2_3_kernelILj256ELj2ELj64EdEEv20rocsparse_direction_iiiNS_24const_host_device_scalarIT2_EEPKiS6_PKS3_S4_S6_S6_S8_S6_PiPS3_21rocsparse_index_base_SB_SB_b
                                        ; -- End function
	.section	.AMDGPU.csdata,"",@progbits
; Kernel info:
; codeLenInByte = 1816
; NumSgprs: 35
; NumVgprs: 48
; NumAgprs: 0
; TotalNumVgprs: 48
; ScratchSize: 0
; MemoryBound: 0
; FloatMode: 240
; IeeeMode: 1
; LDSByteSize: 8448 bytes/workgroup (compile time only)
; SGPRBlocks: 4
; VGPRBlocks: 5
; NumSGPRsForWavesPerEU: 35
; NumVGPRsForWavesPerEU: 48
; AccumOffset: 48
; Occupancy: 7
; WaveLimiterHint : 1
; COMPUTE_PGM_RSRC2:SCRATCH_EN: 0
; COMPUTE_PGM_RSRC2:USER_SGPR: 6
; COMPUTE_PGM_RSRC2:TRAP_HANDLER: 0
; COMPUTE_PGM_RSRC2:TGID_X_EN: 1
; COMPUTE_PGM_RSRC2:TGID_Y_EN: 0
; COMPUTE_PGM_RSRC2:TGID_Z_EN: 0
; COMPUTE_PGM_RSRC2:TIDIG_COMP_CNT: 0
; COMPUTE_PGM_RSRC3_GFX90A:ACCUM_OFFSET: 11
; COMPUTE_PGM_RSRC3_GFX90A:TG_SPLIT: 0
	.section	.text._ZN9rocsparseL39bsrgeam_wf_per_row_multipass_2_3_kernelILj256ELj3ELj32EdEEv20rocsparse_direction_iiiNS_24const_host_device_scalarIT2_EEPKiS6_PKS3_S4_S6_S6_S8_S6_PiPS3_21rocsparse_index_base_SB_SB_b,"axG",@progbits,_ZN9rocsparseL39bsrgeam_wf_per_row_multipass_2_3_kernelILj256ELj3ELj32EdEEv20rocsparse_direction_iiiNS_24const_host_device_scalarIT2_EEPKiS6_PKS3_S4_S6_S6_S8_S6_PiPS3_21rocsparse_index_base_SB_SB_b,comdat
	.globl	_ZN9rocsparseL39bsrgeam_wf_per_row_multipass_2_3_kernelILj256ELj3ELj32EdEEv20rocsparse_direction_iiiNS_24const_host_device_scalarIT2_EEPKiS6_PKS3_S4_S6_S6_S8_S6_PiPS3_21rocsparse_index_base_SB_SB_b ; -- Begin function _ZN9rocsparseL39bsrgeam_wf_per_row_multipass_2_3_kernelILj256ELj3ELj32EdEEv20rocsparse_direction_iiiNS_24const_host_device_scalarIT2_EEPKiS6_PKS3_S4_S6_S6_S8_S6_PiPS3_21rocsparse_index_base_SB_SB_b
	.p2align	8
	.type	_ZN9rocsparseL39bsrgeam_wf_per_row_multipass_2_3_kernelILj256ELj3ELj32EdEEv20rocsparse_direction_iiiNS_24const_host_device_scalarIT2_EEPKiS6_PKS3_S4_S6_S6_S8_S6_PiPS3_21rocsparse_index_base_SB_SB_b,@function
_ZN9rocsparseL39bsrgeam_wf_per_row_multipass_2_3_kernelILj256ELj3ELj32EdEEv20rocsparse_direction_iiiNS_24const_host_device_scalarIT2_EEPKiS6_PKS3_S4_S6_S6_S8_S6_PiPS3_21rocsparse_index_base_SB_SB_b: ; @_ZN9rocsparseL39bsrgeam_wf_per_row_multipass_2_3_kernelILj256ELj3ELj32EdEEv20rocsparse_direction_iiiNS_24const_host_device_scalarIT2_EEPKiS6_PKS3_S4_S6_S6_S8_S6_PiPS3_21rocsparse_index_base_SB_SB_b
; %bb.0:
	s_load_dwordx4 s[8:11], s[4:5], 0x68
	s_load_dwordx2 s[12:13], s[4:5], 0x10
	s_load_dwordx2 s[0:1], s[4:5], 0x30
	s_waitcnt lgkmcnt(0)
	s_bitcmp1_b32 s11, 0
	s_cselect_b64 s[14:15], -1, 0
	s_xor_b64 s[2:3], s[14:15], -1
	s_and_b64 vcc, exec, s[14:15]
	v_pk_mov_b32 v[4:5], s[12:13], s[12:13] op_sel:[0,1]
	s_cbranch_vccnz .LBB10_2
; %bb.1:
	v_pk_mov_b32 v[2:3], s[12:13], s[12:13] op_sel:[0,1]
	flat_load_dwordx2 v[4:5], v[2:3]
.LBB10_2:
	s_andn2_b64 vcc, exec, s[2:3]
	v_pk_mov_b32 v[6:7], s[0:1], s[0:1] op_sel:[0,1]
	s_cbranch_vccnz .LBB10_4
; %bb.3:
	v_pk_mov_b32 v[2:3], s[0:1], s[0:1] op_sel:[0,1]
	flat_load_dwordx2 v[6:7], v[2:3]
.LBB10_4:
	s_load_dwordx4 s[12:15], s[4:5], 0x0
	s_lshl_b32 s0, s6, 3
	v_lshrrev_b32_e32 v1, 5, v0
	s_and_b32 s0, s0, 0x7fffff8
	v_or_b32_e32 v2, s0, v1
	s_waitcnt lgkmcnt(0)
	v_cmp_gt_i32_e32 vcc, s13, v2
	s_and_saveexec_b64 s[0:1], vcc
	s_cbranch_execz .LBB10_39
; %bb.5:
	s_load_dwordx4 s[16:19], s[4:5], 0x18
	s_load_dwordx4 s[20:23], s[4:5], 0x38
	s_load_dwordx2 s[0:1], s[4:5], 0x50
	v_lshlrev_b32_e32 v10, 2, v2
	s_waitcnt lgkmcnt(0)
	global_load_dwordx2 v[2:3], v10, s[16:17]
	global_load_dwordx2 v[8:9], v10, s[20:21]
	global_load_dword v14, v10, s[0:1]
	s_waitcnt vmcnt(0)
	v_subrev_u32_e32 v10, s8, v2
	v_cmp_lt_i32_e32 vcc, v2, v3
	v_mov_b32_e32 v2, s14
	s_and_saveexec_b64 s[0:1], vcc
	s_cbranch_execz .LBB10_7
; %bb.6:
	v_ashrrev_i32_e32 v11, 31, v10
	v_lshlrev_b64 v[12:13], 2, v[10:11]
	v_mov_b32_e32 v2, s19
	v_add_co_u32_e32 v12, vcc, s18, v12
	v_addc_co_u32_e32 v13, vcc, v2, v13, vcc
	global_load_dword v2, v[12:13], off
	s_waitcnt vmcnt(0)
	v_subrev_u32_e32 v2, s8, v2
.LBB10_7:
	s_or_b64 exec, exec, s[0:1]
	s_load_dwordx4 s[24:27], s[4:5], 0x58
	s_load_dwordx2 s[6:7], s[4:5], 0x28
	s_load_dwordx2 s[16:17], s[4:5], 0x48
	v_subrev_u32_e32 v12, s9, v8
	v_cmp_lt_i32_e32 vcc, v8, v9
	v_mov_b32_e32 v8, s14
	s_and_saveexec_b64 s[0:1], vcc
	s_cbranch_execz .LBB10_9
; %bb.8:
	v_ashrrev_i32_e32 v13, 31, v12
	v_lshlrev_b64 v[16:17], 2, v[12:13]
	v_mov_b32_e32 v8, s23
	v_add_co_u32_e32 v16, vcc, s22, v16
	v_addc_co_u32_e32 v17, vcc, v8, v17, vcc
	global_load_dword v8, v[16:17], off
	s_waitcnt vmcnt(0)
	v_subrev_u32_e32 v8, s9, v8
.LBB10_9:
	s_or_b64 exec, exec, s[0:1]
	v_mul_u32_u24_e32 v1, 0x120, v1
	v_lshlrev_b32_e32 v33, 3, v1
	v_mbcnt_lo_u32_b32 v1, -1, 0
	v_and_b32_e32 v11, 0xe0, v0
	v_and_b32_e32 v0, 31, v0
	v_mbcnt_hi_u32_b32 v1, -1, v1
	v_subrev_u32_e32 v34, s8, v3
	v_min_i32_e32 v48, v8, v2
	v_and_b32_e32 v2, 64, v1
	v_xor_b32_e32 v3, 31, v0
	v_add_u32_e32 v2, 64, v2
	v_lshrrev_b32_e64 v38, v3, -1
	v_xor_b32_e32 v3, 16, v1
	v_cmp_lt_i32_e32 vcc, v3, v2
	v_cndmask_b32_e32 v3, v1, v3, vcc
	v_lshlrev_b32_e32 v40, 2, v3
	v_xor_b32_e32 v3, 8, v1
	v_cmp_lt_i32_e32 vcc, v3, v2
	v_cndmask_b32_e32 v3, v1, v3, vcc
	v_lshlrev_b32_e32 v41, 2, v3
	;; [unrolled: 4-line block ×3, first 2 shown]
	v_xor_b32_e32 v3, 2, v1
	v_cmp_lt_i32_e32 vcc, v3, v2
	v_cndmask_b32_e32 v3, v1, v3, vcc
	s_cmp_lg_u32 s12, 0
	v_lshlrev_b32_e32 v43, 2, v3
	v_xor_b32_e32 v3, 1, v1
	v_or_b32_e32 v32, 0x4800, v11
	s_movk_i32 s15, 0x48
	s_mov_b32 s0, 0
	s_cselect_b64 s[2:3], -1, 0
	v_cmp_lt_i32_e32 vcc, v3, v2
	v_add_u32_e32 v8, v10, v0
	v_add_u32_e32 v10, v12, v0
	v_mad_u32_u24 v37, v0, s15, v33
	v_mov_b32_e32 v13, 0
	s_cmp_eq_u32 s12, 0
	v_add_u32_e32 v39, s10, v0
	v_cndmask_b32_e32 v1, v1, v3, vcc
	v_add_u32_e32 v45, v32, v0
	s_mov_b32 s1, s0
	s_mov_b32 s4, s0
	;; [unrolled: 1-line block ×3, first 2 shown]
	v_cndmask_b32_e64 v0, 0, 1, s[2:3]
	v_subrev_u32_e32 v35, s9, v9
	v_subrev_u32_e32 v36, s10, v14
	v_lshlrev_b32_e32 v44, 2, v1
	s_cselect_b32 s30, 8, 24
	s_cselect_b32 s31, 16, 48
	;; [unrolled: 1-line block ×6, first 2 shown]
	s_mov_b64 s[10:11], 0
	v_pk_mov_b32 v[14:15], s[0:1], s[0:1] op_sel:[0,1]
	v_pk_mov_b32 v[16:17], s[4:5], s[4:5] op_sel:[0,1]
	v_mov_b32_e32 v18, v13
	v_mov_b32_e32 v19, v13
	v_cmp_ne_u32_e64 s[0:1], 1, v0
	v_mov_b32_e32 v46, 1
	s_branch .LBB10_11
.LBB10_10:                              ;   in Loop: Header=BB10_11 Depth=1
	s_or_b64 exec, exec, s[4:5]
	ds_bpermute_b32 v0, v40, v47
	s_bcnt1_i32_b64 s2, vcc
	v_add_u32_e32 v36, s2, v36
	s_waitcnt lgkmcnt(0)
	v_min_i32_e32 v0, v0, v47
	ds_bpermute_b32 v1, v41, v0
	s_waitcnt lgkmcnt(0)
	v_min_i32_e32 v0, v1, v0
	ds_bpermute_b32 v1, v42, v0
	;; [unrolled: 3-line block ×4, first 2 shown]
	s_waitcnt lgkmcnt(0)
	v_min_i32_e32 v48, v1, v0
	v_cmp_le_i32_e32 vcc, s14, v48
	s_or_b64 s[10:11], vcc, s[10:11]
	s_andn2_b64 exec, exec, s[10:11]
	s_cbranch_execz .LBB10_39
.LBB10_11:                              ; =>This Loop Header: Depth=1
                                        ;     Child Loop BB10_14 Depth 2
                                        ;     Child Loop BB10_27 Depth 2
	v_cmp_lt_i32_e32 vcc, v8, v34
	v_mov_b32_e32 v47, s14
	ds_write_b8 v45, v13
	ds_write2_b64 v37, v[14:15], v[16:17] offset1:1
	ds_write2_b64 v37, v[14:15], v[16:17] offset0:2 offset1:3
	ds_write2_b64 v37, v[14:15], v[16:17] offset0:4 offset1:5
	ds_write2_b64 v37, v[14:15], v[16:17] offset0:6 offset1:7
	ds_write_b64 v37, v[18:19] offset:64
	s_waitcnt lgkmcnt(0)
	s_and_saveexec_b64 s[12:13], vcc
	s_cbranch_execz .LBB10_24
; %bb.12:                               ;   in Loop: Header=BB10_11 Depth=1
	v_mad_u64_u32 v[0:1], s[2:3], v8, 9, 8
	s_mov_b64 s[20:21], 0
	v_mov_b32_e32 v47, s14
	s_branch .LBB10_14
.LBB10_13:                              ;   in Loop: Header=BB10_14 Depth=2
	s_or_b64 exec, exec, s[28:29]
	s_and_b64 s[2:3], exec, s[4:5]
	s_or_b64 s[20:21], s[2:3], s[20:21]
	s_andn2_b64 exec, exec, s[20:21]
	s_cbranch_execz .LBB10_23
.LBB10_14:                              ;   Parent Loop BB10_11 Depth=1
                                        ; =>  This Inner Loop Header: Depth=2
	v_ashrrev_i32_e32 v9, 31, v8
	v_lshlrev_b64 v[2:3], 2, v[8:9]
	v_mov_b32_e32 v1, s19
	v_add_co_u32_e32 v2, vcc, s18, v2
	v_addc_co_u32_e32 v3, vcc, v1, v3, vcc
	global_load_dword v1, v[2:3], off
	s_waitcnt vmcnt(0)
	v_subrev_u32_e32 v2, s8, v1
	v_sub_u32_e32 v1, v2, v48
	v_cmp_gt_u32_e64 s[2:3], 32, v1
	v_cmp_lt_u32_e32 vcc, 31, v1
	s_and_saveexec_b64 s[4:5], vcc
	s_xor_b64 s[4:5], exec, s[4:5]
; %bb.15:                               ;   in Loop: Header=BB10_14 Depth=2
	v_min_i32_e32 v47, v2, v47
                                        ; implicit-def: $vgpr1
; %bb.16:                               ;   in Loop: Header=BB10_14 Depth=2
	s_andn2_saveexec_b64 s[28:29], s[4:5]
	s_cbranch_execz .LBB10_21
; %bb.17:                               ;   in Loop: Header=BB10_14 Depth=2
	v_add_u32_e32 v12, -8, v0
	v_lshlrev_b64 v[2:3], 3, v[12:13]
	v_mov_b32_e32 v11, s7
	v_add_co_u32_e32 v2, vcc, s6, v2
	v_addc_co_u32_e32 v3, vcc, v11, v3, vcc
	global_load_dwordx2 v[22:23], v[2:3], off
	v_add_u32_e32 v12, -4, v0
	v_add_u32_e32 v3, v32, v1
	v_mul_lo_u32 v1, v1, s15
	v_lshlrev_b64 v[24:25], 3, v[12:13]
	v_add_u32_e32 v9, v33, v1
	v_add_co_u32_e64 v24, s[4:5], s6, v24
	s_and_b64 vcc, exec, s[0:1]
	v_add_u32_e32 v20, -2, v0
	v_add_u32_e32 v28, -7, v0
	v_add_u32_e32 v2, -1, v0
	v_add_u32_e32 v26, -6, v0
	v_add_u32_e32 v12, -5, v0
	v_addc_co_u32_e64 v25, s[4:5], v11, v25, s[4:5]
	ds_write_b8 v3, v46
	s_waitcnt vmcnt(0)
	v_mul_f64 v[22:23], v[4:5], v[22:23]
	ds_write_b64 v9, v[22:23]
	v_add_u32_e32 v22, -3, v0
	s_cbranch_vccnz .LBB10_19
; %bb.18:                               ;   in Loop: Header=BB10_14 Depth=2
	v_lshlrev_b64 v[30:31], 3, v[12:13]
	v_mov_b32_e32 v11, s7
	v_add_co_u32_e32 v30, vcc, s6, v30
	v_mov_b32_e32 v21, v13
	v_addc_co_u32_e32 v31, vcc, v11, v31, vcc
	v_lshlrev_b64 v[50:51], 3, v[20:21]
	v_add_co_u32_e32 v50, vcc, s6, v50
	v_mov_b32_e32 v29, v13
	v_addc_co_u32_e32 v51, vcc, v11, v51, vcc
	v_lshlrev_b64 v[52:53], 3, v[28:29]
	v_add_co_u32_e32 v52, vcc, s6, v52
	v_mov_b32_e32 v3, v13
	v_addc_co_u32_e32 v53, vcc, v11, v53, vcc
	global_load_dwordx2 v[54:55], v[50:51], off
	global_load_dwordx2 v[56:57], v[52:53], off
	;; [unrolled: 1-line block ×4, first 2 shown]
	v_lshlrev_b64 v[30:31], 3, v[2:3]
	v_add_co_u32_e32 v30, vcc, s6, v30
	v_mov_b32_e32 v27, v13
	v_addc_co_u32_e32 v31, vcc, v11, v31, vcc
	v_lshlrev_b64 v[50:51], 3, v[26:27]
	v_add_co_u32_e32 v50, vcc, s6, v50
	v_mov_b32_e32 v23, v13
	v_addc_co_u32_e32 v51, vcc, v11, v51, vcc
	;; [unrolled: 4-line block ×3, first 2 shown]
	v_lshlrev_b64 v[62:63], 3, v[0:1]
	v_add_co_u32_e32 v62, vcc, s6, v62
	v_addc_co_u32_e32 v63, vcc, v11, v63, vcc
	global_load_dwordx2 v[64:65], v[30:31], off
	global_load_dwordx2 v[66:67], v[50:51], off
	;; [unrolled: 1-line block ×4, first 2 shown]
	s_waitcnt vmcnt(7)
	v_mul_f64 v[50:51], v[4:5], v[54:55]
	s_waitcnt vmcnt(6)
	v_mul_f64 v[52:53], v[4:5], v[56:57]
	;; [unrolled: 2-line block ×8, first 2 shown]
	ds_write2_b64 v9, v[30:31], v[50:51] offset0:1 offset1:2
	ds_write2_b64 v9, v[52:53], v[54:55] offset0:3 offset1:4
	;; [unrolled: 1-line block ×4, first 2 shown]
	s_cbranch_execz .LBB10_20
	s_branch .LBB10_21
.LBB10_19:                              ;   in Loop: Header=BB10_14 Depth=2
.LBB10_20:                              ;   in Loop: Header=BB10_14 Depth=2
	v_mov_b32_e32 v29, v13
	v_lshlrev_b64 v[28:29], 3, v[28:29]
	v_mov_b32_e32 v11, s7
	v_add_co_u32_e32 v28, vcc, s6, v28
	v_mov_b32_e32 v27, v13
	v_addc_co_u32_e32 v29, vcc, v11, v29, vcc
	v_lshlrev_b64 v[26:27], 3, v[26:27]
	v_add_co_u32_e32 v26, vcc, s6, v26
	v_addc_co_u32_e32 v27, vcc, v11, v27, vcc
	v_lshlrev_b64 v[30:31], 3, v[12:13]
	v_add_co_u32_e32 v30, vcc, s6, v30
	v_mov_b32_e32 v23, v13
	v_addc_co_u32_e32 v31, vcc, v11, v31, vcc
	v_lshlrev_b64 v[22:23], 3, v[22:23]
	v_add_co_u32_e32 v22, vcc, s6, v22
	v_mov_b32_e32 v21, v13
	;; [unrolled: 4-line block ×4, first 2 shown]
	global_load_dwordx2 v[50:51], v[26:27], off
	global_load_dwordx2 v[52:53], v[30:31], off
	;; [unrolled: 1-line block ×4, first 2 shown]
	v_addc_co_u32_e32 v3, vcc, v11, v3, vcc
	v_lshlrev_b64 v[24:25], 3, v[0:1]
	v_add_co_u32_e32 v24, vcc, s6, v24
	v_addc_co_u32_e32 v25, vcc, v11, v25, vcc
	global_load_dwordx2 v[26:27], v[22:23], off
	global_load_dwordx2 v[28:29], v[20:21], off
	;; [unrolled: 1-line block ×4, first 2 shown]
	s_waitcnt vmcnt(7)
	v_mul_f64 v[20:21], v[4:5], v[50:51]
	s_waitcnt vmcnt(6)
	v_mul_f64 v[22:23], v[4:5], v[52:53]
	;; [unrolled: 2-line block ×8, first 2 shown]
	ds_write2_b64 v9, v[2:3], v[20:21] offset0:1 offset1:2
	ds_write2_b64 v9, v[22:23], v[24:25] offset0:3 offset1:4
	;; [unrolled: 1-line block ×4, first 2 shown]
.LBB10_21:                              ;   in Loop: Header=BB10_14 Depth=2
	s_or_b64 exec, exec, s[28:29]
	s_mov_b64 s[4:5], -1
	s_and_saveexec_b64 s[28:29], s[2:3]
	s_cbranch_execz .LBB10_13
; %bb.22:                               ;   in Loop: Header=BB10_14 Depth=2
	v_add_u32_e32 v8, 32, v8
	v_cmp_ge_i32_e32 vcc, v8, v34
	v_add_u32_e32 v0, 0x120, v0
	s_orn2_b64 s[4:5], vcc, exec
	s_branch .LBB10_13
.LBB10_23:                              ;   in Loop: Header=BB10_11 Depth=1
	s_or_b64 exec, exec, s[20:21]
.LBB10_24:                              ;   in Loop: Header=BB10_11 Depth=1
	s_or_b64 exec, exec, s[12:13]
	v_cmp_lt_i32_e32 vcc, v10, v35
	s_waitcnt lgkmcnt(0)
	s_and_saveexec_b64 s[12:13], vcc
	s_cbranch_execz .LBB10_37
; %bb.25:                               ;   in Loop: Header=BB10_11 Depth=1
	v_mad_u64_u32 v[20:21], s[2:3], v10, 9, 8
	s_mov_b64 s[20:21], 0
	s_branch .LBB10_27
.LBB10_26:                              ;   in Loop: Header=BB10_27 Depth=2
	s_or_b64 exec, exec, s[28:29]
	s_and_b64 s[2:3], exec, s[4:5]
	s_or_b64 s[20:21], s[2:3], s[20:21]
	s_andn2_b64 exec, exec, s[20:21]
	s_cbranch_execz .LBB10_36
.LBB10_27:                              ;   Parent Loop BB10_11 Depth=1
                                        ; =>  This Inner Loop Header: Depth=2
	v_ashrrev_i32_e32 v11, 31, v10
	v_lshlrev_b64 v[0:1], 2, v[10:11]
	v_mov_b32_e32 v2, s23
	v_add_co_u32_e32 v0, vcc, s22, v0
	v_addc_co_u32_e32 v1, vcc, v2, v1, vcc
	global_load_dword v0, v[0:1], off
	s_waitcnt vmcnt(0)
	v_subrev_u32_e32 v1, s9, v0
	v_sub_u32_e32 v0, v1, v48
	v_cmp_gt_u32_e64 s[2:3], 32, v0
	v_cmp_lt_u32_e32 vcc, 31, v0
	s_and_saveexec_b64 s[4:5], vcc
	s_xor_b64 s[4:5], exec, s[4:5]
; %bb.28:                               ;   in Loop: Header=BB10_27 Depth=2
	v_min_i32_e32 v47, v1, v47
                                        ; implicit-def: $vgpr0
; %bb.29:                               ;   in Loop: Header=BB10_27 Depth=2
	s_andn2_saveexec_b64 s[28:29], s[4:5]
	s_cbranch_execz .LBB10_34
; %bb.30:                               ;   in Loop: Header=BB10_27 Depth=2
	v_add_u32_e32 v12, -8, v20
	v_lshlrev_b64 v[2:3], 3, v[12:13]
	v_mov_b32_e32 v11, s17
	v_add_co_u32_e32 v2, vcc, s16, v2
	v_addc_co_u32_e32 v3, vcc, v11, v3, vcc
	global_load_dwordx2 v[50:51], v[2:3], off
	v_add_u32_e32 v1, v32, v0
	v_mul_lo_u32 v0, v0, s15
	v_add_u32_e32 v9, v33, v0
	ds_write_b8 v1, v46
	ds_read2_b64 v[0:3], v9 offset1:1
	v_add_u32_e32 v12, -4, v20
	v_lshlrev_b64 v[26:27], 3, v[12:13]
	v_add_co_u32_e64 v26, s[4:5], s16, v26
	s_and_b64 vcc, exec, s[0:1]
	v_add_u32_e32 v24, -2, v20
	v_add_u32_e32 v30, -7, v20
	;; [unrolled: 1-line block ×5, first 2 shown]
	v_addc_co_u32_e64 v27, s[4:5], v11, v27, s[4:5]
	s_waitcnt vmcnt(0) lgkmcnt(0)
	v_fmac_f64_e32 v[0:1], v[6:7], v[50:51]
	ds_write_b64 v9, v[0:1]
	v_add_u32_e32 v0, -3, v20
	s_cbranch_vccnz .LBB10_32
; %bb.31:                               ;   in Loop: Header=BB10_27 Depth=2
	v_lshlrev_b64 v[50:51], 3, v[12:13]
	v_mov_b32_e32 v11, s17
	v_add_co_u32_e32 v50, vcc, s16, v50
	v_mov_b32_e32 v25, v13
	v_addc_co_u32_e32 v51, vcc, v11, v51, vcc
	v_lshlrev_b64 v[52:53], 3, v[24:25]
	v_add_co_u32_e32 v52, vcc, s16, v52
	v_mov_b32_e32 v31, v13
	v_addc_co_u32_e32 v53, vcc, v11, v53, vcc
	v_lshlrev_b64 v[54:55], 3, v[30:31]
	;; [unrolled: 4-line block ×3, first 2 shown]
	v_add_co_u32_e32 v56, vcc, s16, v56
	v_mov_b32_e32 v29, v13
	global_load_dwordx2 v[62:63], v[26:27], off
	v_addc_co_u32_e32 v57, vcc, v11, v57, vcc
	global_load_dwordx2 v[64:65], v[50:51], off
	global_load_dwordx2 v[66:67], v[52:53], off
	;; [unrolled: 1-line block ×4, first 2 shown]
	v_lshlrev_b64 v[50:51], 3, v[28:29]
	v_add_co_u32_e32 v50, vcc, s16, v50
	v_mov_b32_e32 v1, v13
	v_addc_co_u32_e32 v51, vcc, v11, v51, vcc
	v_lshlrev_b64 v[52:53], 3, v[0:1]
	v_add_co_u32_e32 v52, vcc, s16, v52
	v_mov_b32_e32 v21, v13
	v_addc_co_u32_e32 v53, vcc, v11, v53, vcc
	v_lshlrev_b64 v[54:55], 3, v[20:21]
	v_add_co_u32_e32 v54, vcc, s16, v54
	v_addc_co_u32_e32 v55, vcc, v11, v55, vcc
	global_load_dwordx2 v[72:73], v[50:51], off
	global_load_dwordx2 v[74:75], v[52:53], off
	;; [unrolled: 1-line block ×3, first 2 shown]
	ds_read2_b64 v[50:53], v9 offset0:4 offset1:5
	ds_read2_b64 v[54:57], v9 offset0:2 offset1:3
	;; [unrolled: 1-line block ×3, first 2 shown]
	ds_read_b64 v[78:79], v9 offset:64
	s_waitcnt vmcnt(7) lgkmcnt(3)
	v_fmac_f64_e32 v[50:51], v[6:7], v[62:63]
	s_waitcnt vmcnt(6)
	v_fma_f64 v[62:63], v[6:7], v[64:65], v[2:3]
	s_waitcnt vmcnt(5) lgkmcnt(2)
	v_fmac_f64_e32 v[54:55], v[6:7], v[66:67]
	s_waitcnt vmcnt(4)
	v_fmac_f64_e32 v[56:57], v[6:7], v[68:69]
	s_waitcnt vmcnt(3)
	v_fmac_f64_e32 v[52:53], v[6:7], v[70:71]
	s_waitcnt vmcnt(2) lgkmcnt(1)
	v_fmac_f64_e32 v[58:59], v[6:7], v[72:73]
	s_waitcnt vmcnt(1)
	v_fmac_f64_e32 v[60:61], v[6:7], v[74:75]
	s_waitcnt vmcnt(0) lgkmcnt(0)
	v_fmac_f64_e32 v[78:79], v[6:7], v[76:77]
	ds_write2_b64 v9, v[62:63], v[54:55] offset0:1 offset1:2
	ds_write2_b64 v9, v[56:57], v[50:51] offset0:3 offset1:4
	;; [unrolled: 1-line block ×4, first 2 shown]
	s_cbranch_execz .LBB10_33
	s_branch .LBB10_34
.LBB10_32:                              ;   in Loop: Header=BB10_27 Depth=2
.LBB10_33:                              ;   in Loop: Header=BB10_27 Depth=2
	v_mov_b32_e32 v31, v13
	v_lshlrev_b64 v[30:31], 3, v[30:31]
	v_mov_b32_e32 v11, s17
	v_add_co_u32_e32 v30, vcc, s16, v30
	v_mov_b32_e32 v29, v13
	v_addc_co_u32_e32 v31, vcc, v11, v31, vcc
	v_lshlrev_b64 v[28:29], 3, v[28:29]
	v_add_co_u32_e32 v28, vcc, s16, v28
	v_addc_co_u32_e32 v29, vcc, v11, v29, vcc
	v_lshlrev_b64 v[50:51], 3, v[12:13]
	v_add_co_u32_e32 v50, vcc, s16, v50
	v_mov_b32_e32 v1, v13
	v_addc_co_u32_e32 v51, vcc, v11, v51, vcc
	v_lshlrev_b64 v[0:1], 3, v[0:1]
	v_add_co_u32_e32 v0, vcc, s16, v0
	v_addc_co_u32_e32 v1, vcc, v11, v1, vcc
	v_mov_b32_e32 v25, v13
	global_load_dwordx2 v[54:55], v[26:27], off
	global_load_dwordx2 v[56:57], v[30:31], off
	;; [unrolled: 1-line block ×5, first 2 shown]
	v_lshlrev_b64 v[0:1], 3, v[24:25]
	v_add_co_u32_e32 v0, vcc, s16, v0
	v_mov_b32_e32 v23, v13
	v_addc_co_u32_e32 v1, vcc, v11, v1, vcc
	v_lshlrev_b64 v[22:23], 3, v[22:23]
	v_add_co_u32_e32 v22, vcc, s16, v22
	v_mov_b32_e32 v21, v13
	v_addc_co_u32_e32 v23, vcc, v11, v23, vcc
	v_lshlrev_b64 v[24:25], 3, v[20:21]
	v_add_co_u32_e32 v24, vcc, s16, v24
	v_addc_co_u32_e32 v25, vcc, v11, v25, vcc
	global_load_dwordx2 v[30:31], v[0:1], off
	global_load_dwordx2 v[64:65], v[22:23], off
	;; [unrolled: 1-line block ×3, first 2 shown]
	ds_read2_b64 v[22:25], v9 offset0:4 offset1:5
	ds_read2_b64 v[26:29], v9 offset0:2 offset1:3
	;; [unrolled: 1-line block ×3, first 2 shown]
	ds_read_b64 v[0:1], v9 offset:64
	s_waitcnt vmcnt(6)
	v_fmac_f64_e32 v[2:3], v[6:7], v[56:57]
	s_waitcnt vmcnt(5) lgkmcnt(2)
	v_fmac_f64_e32 v[26:27], v[6:7], v[58:59]
	v_fmac_f64_e32 v[22:23], v[6:7], v[54:55]
	s_waitcnt vmcnt(4)
	v_fmac_f64_e32 v[28:29], v[6:7], v[60:61]
	s_waitcnt vmcnt(3)
	v_fmac_f64_e32 v[24:25], v[6:7], v[62:63]
	s_waitcnt vmcnt(2) lgkmcnt(1)
	v_fmac_f64_e32 v[50:51], v[6:7], v[30:31]
	s_waitcnt vmcnt(1)
	v_fmac_f64_e32 v[52:53], v[6:7], v[64:65]
	s_waitcnt vmcnt(0) lgkmcnt(0)
	v_fmac_f64_e32 v[0:1], v[6:7], v[66:67]
	v_mov_b32_e32 v30, v50
	v_mov_b32_e32 v31, v51
	;; [unrolled: 1-line block ×4, first 2 shown]
	ds_write2_b64 v9, v[2:3], v[26:27] offset0:1 offset1:2
	ds_write2_b64 v9, v[28:29], v[22:23] offset0:3 offset1:4
	;; [unrolled: 1-line block ×4, first 2 shown]
.LBB10_34:                              ;   in Loop: Header=BB10_27 Depth=2
	s_or_b64 exec, exec, s[28:29]
	s_mov_b64 s[4:5], -1
	s_and_saveexec_b64 s[28:29], s[2:3]
	s_cbranch_execz .LBB10_26
; %bb.35:                               ;   in Loop: Header=BB10_27 Depth=2
	v_add_u32_e32 v10, 32, v10
	v_cmp_ge_i32_e32 vcc, v10, v35
	v_add_u32_e32 v20, 0x120, v20
	s_orn2_b64 s[4:5], vcc, exec
	s_branch .LBB10_26
.LBB10_36:                              ;   in Loop: Header=BB10_11 Depth=1
	s_or_b64 exec, exec, s[20:21]
.LBB10_37:                              ;   in Loop: Header=BB10_11 Depth=1
	s_or_b64 exec, exec, s[12:13]
	s_waitcnt lgkmcnt(0)
	ds_read_u8 v0, v45
	s_waitcnt lgkmcnt(0)
	v_and_b32_e32 v1, 1, v0
	v_cmp_eq_u32_e64 s[2:3], 1, v1
	v_cmp_ne_u16_e32 vcc, 0, v0
	s_and_saveexec_b64 s[4:5], s[2:3]
	s_cbranch_execz .LBB10_10
; %bb.38:                               ;   in Loop: Header=BB10_11 Depth=1
	v_and_b32_e32 v0, vcc_lo, v38
	v_bcnt_u32_b32 v0, v0, 0
	v_add3_u32 v0, v36, v0, -1
	v_ashrrev_i32_e32 v1, 31, v0
	v_lshlrev_b64 v[2:3], 2, v[0:1]
	v_mov_b32_e32 v1, s25
	v_add_co_u32_e64 v2, s[2:3], s24, v2
	v_add_u32_e32 v9, v39, v48
	v_addc_co_u32_e64 v3, s[2:3], v1, v3, s[2:3]
	global_store_dword v[2:3], v9, off
	v_lshl_add_u32 v12, v0, 3, v0
	ds_read2_b64 v[0:3], v37 offset1:4
	v_lshlrev_b64 v[20:21], 3, v[12:13]
	v_mov_b32_e32 v9, s27
	v_add_co_u32_e64 v20, s[2:3], s26, v20
	v_addc_co_u32_e64 v21, s[2:3], v9, v21, s[2:3]
	s_waitcnt lgkmcnt(0)
	global_store_dwordx2 v[20:21], v[0:1], off
	v_add_u32_e32 v0, 1, v12
	v_mov_b32_e32 v1, v13
	v_lshlrev_b64 v[0:1], 3, v[0:1]
	v_add_co_u32_e64 v0, s[2:3], s26, v0
	v_add_u32_e32 v20, 2, v12
	v_mov_b32_e32 v21, v13
	v_addc_co_u32_e64 v1, s[2:3], v9, v1, s[2:3]
	v_lshlrev_b64 v[20:21], 3, v[20:21]
	v_add_co_u32_e64 v20, s[2:3], s26, v20
	v_add_u32_e32 v22, 3, v12
	v_mov_b32_e32 v23, v13
	v_addc_co_u32_e64 v21, s[2:3], v9, v21, s[2:3]
	;; [unrolled: 5-line block ×6, first 2 shown]
	v_lshlrev_b64 v[30:31], 3, v[30:31]
	v_add_co_u32_e64 v30, s[2:3], s26, v30
	v_add_u32_e32 v12, 8, v12
	v_addc_co_u32_e64 v31, s[2:3], v9, v31, s[2:3]
	v_lshlrev_b64 v[48:49], 3, v[12:13]
	v_add_co_u32_e64 v48, s[2:3], s26, v48
	v_addc_co_u32_e64 v49, s[2:3], v9, v49, s[2:3]
	v_add_u32_e32 v9, s30, v37
	v_add_u32_e32 v11, s31, v37
	ds_read_b64 v[50:51], v9
	ds_read_b64 v[52:53], v11
	v_add_u32_e32 v9, s33, v37
	ds_read_b64 v[54:55], v9
	ds_read_b64 v[56:57], v37 offset:64
	s_waitcnt lgkmcnt(3)
	global_store_dwordx2 v[0:1], v[50:51], off
	s_waitcnt lgkmcnt(2)
	global_store_dwordx2 v[20:21], v[52:53], off
	v_add_u32_e32 v0, s34, v37
	v_add_u32_e32 v9, s35, v37
	;; [unrolled: 1-line block ×3, first 2 shown]
	ds_read_b64 v[0:1], v0
	ds_read_b64 v[20:21], v9
	;; [unrolled: 1-line block ×3, first 2 shown]
	s_waitcnt lgkmcnt(4)
	global_store_dwordx2 v[22:23], v[54:55], off
	global_store_dwordx2 v[24:25], v[2:3], off
	s_waitcnt lgkmcnt(2)
	global_store_dwordx2 v[26:27], v[0:1], off
	s_waitcnt lgkmcnt(1)
	;; [unrolled: 2-line block ×3, first 2 shown]
	global_store_dwordx2 v[30:31], v[50:51], off
	global_store_dwordx2 v[48:49], v[56:57], off
	s_branch .LBB10_10
.LBB10_39:
	s_endpgm
	.section	.rodata,"a",@progbits
	.p2align	6, 0x0
	.amdhsa_kernel _ZN9rocsparseL39bsrgeam_wf_per_row_multipass_2_3_kernelILj256ELj3ELj32EdEEv20rocsparse_direction_iiiNS_24const_host_device_scalarIT2_EEPKiS6_PKS3_S4_S6_S6_S8_S6_PiPS3_21rocsparse_index_base_SB_SB_b
		.amdhsa_group_segment_fixed_size 18688
		.amdhsa_private_segment_fixed_size 0
		.amdhsa_kernarg_size 120
		.amdhsa_user_sgpr_count 6
		.amdhsa_user_sgpr_private_segment_buffer 1
		.amdhsa_user_sgpr_dispatch_ptr 0
		.amdhsa_user_sgpr_queue_ptr 0
		.amdhsa_user_sgpr_kernarg_segment_ptr 1
		.amdhsa_user_sgpr_dispatch_id 0
		.amdhsa_user_sgpr_flat_scratch_init 0
		.amdhsa_user_sgpr_kernarg_preload_length 0
		.amdhsa_user_sgpr_kernarg_preload_offset 0
		.amdhsa_user_sgpr_private_segment_size 0
		.amdhsa_uses_dynamic_stack 0
		.amdhsa_system_sgpr_private_segment_wavefront_offset 0
		.amdhsa_system_sgpr_workgroup_id_x 1
		.amdhsa_system_sgpr_workgroup_id_y 0
		.amdhsa_system_sgpr_workgroup_id_z 0
		.amdhsa_system_sgpr_workgroup_info 0
		.amdhsa_system_vgpr_workitem_id 0
		.amdhsa_next_free_vgpr 80
		.amdhsa_next_free_sgpr 37
		.amdhsa_accum_offset 80
		.amdhsa_reserve_vcc 1
		.amdhsa_reserve_flat_scratch 0
		.amdhsa_float_round_mode_32 0
		.amdhsa_float_round_mode_16_64 0
		.amdhsa_float_denorm_mode_32 3
		.amdhsa_float_denorm_mode_16_64 3
		.amdhsa_dx10_clamp 1
		.amdhsa_ieee_mode 1
		.amdhsa_fp16_overflow 0
		.amdhsa_tg_split 0
		.amdhsa_exception_fp_ieee_invalid_op 0
		.amdhsa_exception_fp_denorm_src 0
		.amdhsa_exception_fp_ieee_div_zero 0
		.amdhsa_exception_fp_ieee_overflow 0
		.amdhsa_exception_fp_ieee_underflow 0
		.amdhsa_exception_fp_ieee_inexact 0
		.amdhsa_exception_int_div_zero 0
	.end_amdhsa_kernel
	.section	.text._ZN9rocsparseL39bsrgeam_wf_per_row_multipass_2_3_kernelILj256ELj3ELj32EdEEv20rocsparse_direction_iiiNS_24const_host_device_scalarIT2_EEPKiS6_PKS3_S4_S6_S6_S8_S6_PiPS3_21rocsparse_index_base_SB_SB_b,"axG",@progbits,_ZN9rocsparseL39bsrgeam_wf_per_row_multipass_2_3_kernelILj256ELj3ELj32EdEEv20rocsparse_direction_iiiNS_24const_host_device_scalarIT2_EEPKiS6_PKS3_S4_S6_S6_S8_S6_PiPS3_21rocsparse_index_base_SB_SB_b,comdat
.Lfunc_end10:
	.size	_ZN9rocsparseL39bsrgeam_wf_per_row_multipass_2_3_kernelILj256ELj3ELj32EdEEv20rocsparse_direction_iiiNS_24const_host_device_scalarIT2_EEPKiS6_PKS3_S4_S6_S6_S8_S6_PiPS3_21rocsparse_index_base_SB_SB_b, .Lfunc_end10-_ZN9rocsparseL39bsrgeam_wf_per_row_multipass_2_3_kernelILj256ELj3ELj32EdEEv20rocsparse_direction_iiiNS_24const_host_device_scalarIT2_EEPKiS6_PKS3_S4_S6_S6_S8_S6_PiPS3_21rocsparse_index_base_SB_SB_b
                                        ; -- End function
	.section	.AMDGPU.csdata,"",@progbits
; Kernel info:
; codeLenInByte = 3400
; NumSgprs: 41
; NumVgprs: 80
; NumAgprs: 0
; TotalNumVgprs: 80
; ScratchSize: 0
; MemoryBound: 0
; FloatMode: 240
; IeeeMode: 1
; LDSByteSize: 18688 bytes/workgroup (compile time only)
; SGPRBlocks: 5
; VGPRBlocks: 9
; NumSGPRsForWavesPerEU: 41
; NumVGPRsForWavesPerEU: 80
; AccumOffset: 80
; Occupancy: 3
; WaveLimiterHint : 1
; COMPUTE_PGM_RSRC2:SCRATCH_EN: 0
; COMPUTE_PGM_RSRC2:USER_SGPR: 6
; COMPUTE_PGM_RSRC2:TRAP_HANDLER: 0
; COMPUTE_PGM_RSRC2:TGID_X_EN: 1
; COMPUTE_PGM_RSRC2:TGID_Y_EN: 0
; COMPUTE_PGM_RSRC2:TGID_Z_EN: 0
; COMPUTE_PGM_RSRC2:TIDIG_COMP_CNT: 0
; COMPUTE_PGM_RSRC3_GFX90A:ACCUM_OFFSET: 19
; COMPUTE_PGM_RSRC3_GFX90A:TG_SPLIT: 0
	.section	.text._ZN9rocsparseL39bsrgeam_wf_per_row_multipass_2_3_kernelILj256ELj3ELj64EdEEv20rocsparse_direction_iiiNS_24const_host_device_scalarIT2_EEPKiS6_PKS3_S4_S6_S6_S8_S6_PiPS3_21rocsparse_index_base_SB_SB_b,"axG",@progbits,_ZN9rocsparseL39bsrgeam_wf_per_row_multipass_2_3_kernelILj256ELj3ELj64EdEEv20rocsparse_direction_iiiNS_24const_host_device_scalarIT2_EEPKiS6_PKS3_S4_S6_S6_S8_S6_PiPS3_21rocsparse_index_base_SB_SB_b,comdat
	.globl	_ZN9rocsparseL39bsrgeam_wf_per_row_multipass_2_3_kernelILj256ELj3ELj64EdEEv20rocsparse_direction_iiiNS_24const_host_device_scalarIT2_EEPKiS6_PKS3_S4_S6_S6_S8_S6_PiPS3_21rocsparse_index_base_SB_SB_b ; -- Begin function _ZN9rocsparseL39bsrgeam_wf_per_row_multipass_2_3_kernelILj256ELj3ELj64EdEEv20rocsparse_direction_iiiNS_24const_host_device_scalarIT2_EEPKiS6_PKS3_S4_S6_S6_S8_S6_PiPS3_21rocsparse_index_base_SB_SB_b
	.p2align	8
	.type	_ZN9rocsparseL39bsrgeam_wf_per_row_multipass_2_3_kernelILj256ELj3ELj64EdEEv20rocsparse_direction_iiiNS_24const_host_device_scalarIT2_EEPKiS6_PKS3_S4_S6_S6_S8_S6_PiPS3_21rocsparse_index_base_SB_SB_b,@function
_ZN9rocsparseL39bsrgeam_wf_per_row_multipass_2_3_kernelILj256ELj3ELj64EdEEv20rocsparse_direction_iiiNS_24const_host_device_scalarIT2_EEPKiS6_PKS3_S4_S6_S6_S8_S6_PiPS3_21rocsparse_index_base_SB_SB_b: ; @_ZN9rocsparseL39bsrgeam_wf_per_row_multipass_2_3_kernelILj256ELj3ELj64EdEEv20rocsparse_direction_iiiNS_24const_host_device_scalarIT2_EEPKiS6_PKS3_S4_S6_S6_S8_S6_PiPS3_21rocsparse_index_base_SB_SB_b
; %bb.0:
	s_load_dwordx4 s[8:11], s[4:5], 0x68
	s_load_dwordx2 s[12:13], s[4:5], 0x10
	s_load_dwordx2 s[0:1], s[4:5], 0x30
	s_waitcnt lgkmcnt(0)
	s_bitcmp1_b32 s11, 0
	s_cselect_b64 s[14:15], -1, 0
	s_xor_b64 s[2:3], s[14:15], -1
	s_and_b64 vcc, exec, s[14:15]
	v_pk_mov_b32 v[4:5], s[12:13], s[12:13] op_sel:[0,1]
	s_cbranch_vccnz .LBB11_2
; %bb.1:
	v_pk_mov_b32 v[2:3], s[12:13], s[12:13] op_sel:[0,1]
	flat_load_dwordx2 v[4:5], v[2:3]
.LBB11_2:
	s_andn2_b64 vcc, exec, s[2:3]
	v_pk_mov_b32 v[6:7], s[0:1], s[0:1] op_sel:[0,1]
	s_cbranch_vccnz .LBB11_4
; %bb.3:
	v_pk_mov_b32 v[2:3], s[0:1], s[0:1] op_sel:[0,1]
	flat_load_dwordx2 v[6:7], v[2:3]
.LBB11_4:
	s_load_dwordx4 s[12:15], s[4:5], 0x0
	s_lshl_b32 s0, s6, 2
	v_lshrrev_b32_e32 v1, 6, v0
	s_and_b32 s0, s0, 0x3fffffc
	v_or_b32_e32 v2, s0, v1
	s_waitcnt lgkmcnt(0)
	v_cmp_gt_i32_e32 vcc, s13, v2
	s_and_saveexec_b64 s[0:1], vcc
	s_cbranch_execz .LBB11_39
; %bb.5:
	s_load_dwordx4 s[16:19], s[4:5], 0x18
	s_load_dwordx4 s[20:23], s[4:5], 0x38
	s_load_dwordx2 s[0:1], s[4:5], 0x50
	v_lshlrev_b32_e32 v10, 2, v2
	s_waitcnt lgkmcnt(0)
	global_load_dwordx2 v[2:3], v10, s[16:17]
	global_load_dwordx2 v[8:9], v10, s[20:21]
	global_load_dword v14, v10, s[0:1]
	s_waitcnt vmcnt(0)
	v_subrev_u32_e32 v10, s8, v2
	v_cmp_lt_i32_e32 vcc, v2, v3
	v_mov_b32_e32 v2, s14
	s_and_saveexec_b64 s[0:1], vcc
	s_cbranch_execz .LBB11_7
; %bb.6:
	v_ashrrev_i32_e32 v11, 31, v10
	v_lshlrev_b64 v[12:13], 2, v[10:11]
	v_mov_b32_e32 v2, s19
	v_add_co_u32_e32 v12, vcc, s18, v12
	v_addc_co_u32_e32 v13, vcc, v2, v13, vcc
	global_load_dword v2, v[12:13], off
	s_waitcnt vmcnt(0)
	v_subrev_u32_e32 v2, s8, v2
.LBB11_7:
	s_or_b64 exec, exec, s[0:1]
	s_load_dwordx4 s[24:27], s[4:5], 0x58
	s_load_dwordx2 s[6:7], s[4:5], 0x28
	s_load_dwordx2 s[16:17], s[4:5], 0x48
	v_subrev_u32_e32 v12, s9, v8
	v_cmp_lt_i32_e32 vcc, v8, v9
	v_mov_b32_e32 v8, s14
	s_and_saveexec_b64 s[0:1], vcc
	s_cbranch_execz .LBB11_9
; %bb.8:
	v_ashrrev_i32_e32 v13, 31, v12
	v_lshlrev_b64 v[16:17], 2, v[12:13]
	v_mov_b32_e32 v8, s23
	v_add_co_u32_e32 v16, vcc, s22, v16
	v_addc_co_u32_e32 v17, vcc, v8, v17, vcc
	global_load_dword v8, v[16:17], off
	s_waitcnt vmcnt(0)
	v_subrev_u32_e32 v8, s9, v8
.LBB11_9:
	s_or_b64 exec, exec, s[0:1]
	v_mul_u32_u24_e32 v1, 0x240, v1
	v_lshlrev_b32_e32 v35, 3, v1
	v_mbcnt_lo_u32_b32 v1, -1, 0
	v_and_b32_e32 v11, 0xc0, v0
	v_and_b32_e32 v0, 63, v0
	v_mbcnt_hi_u32_b32 v1, -1, v1
	v_subrev_u32_e32 v36, s8, v3
	v_min_i32_e32 v50, v8, v2
	v_and_b32_e32 v2, 64, v1
	v_xor_b32_e32 v3, 63, v0
	v_subrev_u32_e32 v38, s10, v14
	v_add_u32_e32 v2, 64, v2
	v_lshrrev_b64 v[14:15], v3, -1
	v_xor_b32_e32 v3, 32, v1
	v_cmp_lt_i32_e32 vcc, v3, v2
	v_cndmask_b32_e32 v3, v1, v3, vcc
	v_lshlrev_b32_e32 v41, 2, v3
	v_xor_b32_e32 v3, 16, v1
	v_cmp_lt_i32_e32 vcc, v3, v2
	v_cndmask_b32_e32 v3, v1, v3, vcc
	v_lshlrev_b32_e32 v42, 2, v3
	;; [unrolled: 4-line block ×4, first 2 shown]
	v_xor_b32_e32 v3, 2, v1
	v_cmp_lt_i32_e32 vcc, v3, v2
	v_cndmask_b32_e32 v3, v1, v3, vcc
	s_cmp_lg_u32 s12, 0
	v_lshlrev_b32_e32 v45, 2, v3
	v_xor_b32_e32 v3, 1, v1
	v_or_b32_e32 v34, 0x4800, v11
	s_movk_i32 s15, 0x48
	s_mov_b32 s0, 0
	s_cselect_b64 s[2:3], -1, 0
	v_cmp_lt_i32_e32 vcc, v3, v2
	v_add_u32_e32 v8, v10, v0
	v_add_u32_e32 v10, v12, v0
	v_mad_u32_u24 v39, v0, s15, v35
	v_mov_b32_e32 v13, 0
	s_cmp_eq_u32 s12, 0
	v_add_u32_e32 v40, s10, v0
	v_cndmask_b32_e32 v1, v1, v3, vcc
	v_add_u32_e32 v47, v34, v0
	s_mov_b32 s1, s0
	s_mov_b32 s4, s0
	;; [unrolled: 1-line block ×3, first 2 shown]
	v_cndmask_b32_e64 v0, 0, 1, s[2:3]
	v_subrev_u32_e32 v37, s9, v9
	v_lshlrev_b32_e32 v46, 2, v1
	s_cselect_b32 s30, 8, 24
	s_cselect_b32 s31, 16, 48
	;; [unrolled: 1-line block ×6, first 2 shown]
	s_mov_b64 s[10:11], 0
	v_pk_mov_b32 v[16:17], s[0:1], s[0:1] op_sel:[0,1]
	v_pk_mov_b32 v[18:19], s[4:5], s[4:5] op_sel:[0,1]
	v_mov_b32_e32 v20, v13
	v_mov_b32_e32 v21, v13
	v_cmp_ne_u32_e64 s[0:1], 1, v0
	v_mov_b32_e32 v48, 1
	s_branch .LBB11_11
.LBB11_10:                              ;   in Loop: Header=BB11_11 Depth=1
	s_or_b64 exec, exec, s[4:5]
	ds_bpermute_b32 v0, v41, v49
	s_bcnt1_i32_b64 s2, vcc
	v_add_u32_e32 v38, s2, v38
	s_waitcnt lgkmcnt(0)
	v_min_i32_e32 v0, v0, v49
	ds_bpermute_b32 v1, v42, v0
	s_waitcnt lgkmcnt(0)
	v_min_i32_e32 v0, v1, v0
	ds_bpermute_b32 v1, v43, v0
	s_waitcnt lgkmcnt(0)
	v_min_i32_e32 v0, v1, v0
	ds_bpermute_b32 v1, v44, v0
	s_waitcnt lgkmcnt(0)
	v_min_i32_e32 v0, v1, v0
	ds_bpermute_b32 v1, v45, v0
	s_waitcnt lgkmcnt(0)
	v_min_i32_e32 v0, v1, v0
	ds_bpermute_b32 v1, v46, v0
	s_waitcnt lgkmcnt(0)
	v_min_i32_e32 v50, v1, v0
	v_cmp_le_i32_e32 vcc, s14, v50
	s_or_b64 s[10:11], vcc, s[10:11]
	s_andn2_b64 exec, exec, s[10:11]
	s_cbranch_execz .LBB11_39
.LBB11_11:                              ; =>This Loop Header: Depth=1
                                        ;     Child Loop BB11_14 Depth 2
                                        ;     Child Loop BB11_27 Depth 2
	v_cmp_lt_i32_e32 vcc, v8, v36
	v_mov_b32_e32 v49, s14
	ds_write_b8 v47, v13
	ds_write2_b64 v39, v[16:17], v[18:19] offset1:1
	ds_write2_b64 v39, v[16:17], v[18:19] offset0:2 offset1:3
	ds_write2_b64 v39, v[16:17], v[18:19] offset0:4 offset1:5
	;; [unrolled: 1-line block ×3, first 2 shown]
	ds_write_b64 v39, v[20:21] offset:64
	s_waitcnt lgkmcnt(0)
	s_and_saveexec_b64 s[12:13], vcc
	s_cbranch_execz .LBB11_24
; %bb.12:                               ;   in Loop: Header=BB11_11 Depth=1
	v_mad_u64_u32 v[0:1], s[2:3], v8, 9, 8
	s_mov_b64 s[20:21], 0
	v_mov_b32_e32 v49, s14
	s_branch .LBB11_14
.LBB11_13:                              ;   in Loop: Header=BB11_14 Depth=2
	s_or_b64 exec, exec, s[28:29]
	s_and_b64 s[2:3], exec, s[4:5]
	s_or_b64 s[20:21], s[2:3], s[20:21]
	s_andn2_b64 exec, exec, s[20:21]
	s_cbranch_execz .LBB11_23
.LBB11_14:                              ;   Parent Loop BB11_11 Depth=1
                                        ; =>  This Inner Loop Header: Depth=2
	v_ashrrev_i32_e32 v9, 31, v8
	v_lshlrev_b64 v[2:3], 2, v[8:9]
	v_mov_b32_e32 v1, s19
	v_add_co_u32_e32 v2, vcc, s18, v2
	v_addc_co_u32_e32 v3, vcc, v1, v3, vcc
	global_load_dword v1, v[2:3], off
	s_waitcnt vmcnt(0)
	v_subrev_u32_e32 v2, s8, v1
	v_sub_u32_e32 v1, v2, v50
	v_cmp_gt_u32_e64 s[2:3], 64, v1
	v_cmp_lt_u32_e32 vcc, 63, v1
	s_and_saveexec_b64 s[4:5], vcc
	s_xor_b64 s[4:5], exec, s[4:5]
; %bb.15:                               ;   in Loop: Header=BB11_14 Depth=2
	v_min_i32_e32 v49, v2, v49
                                        ; implicit-def: $vgpr1
; %bb.16:                               ;   in Loop: Header=BB11_14 Depth=2
	s_andn2_saveexec_b64 s[28:29], s[4:5]
	s_cbranch_execz .LBB11_21
; %bb.17:                               ;   in Loop: Header=BB11_14 Depth=2
	v_add_u32_e32 v12, -8, v0
	v_lshlrev_b64 v[2:3], 3, v[12:13]
	v_mov_b32_e32 v11, s7
	v_add_co_u32_e32 v2, vcc, s6, v2
	v_addc_co_u32_e32 v3, vcc, v11, v3, vcc
	global_load_dwordx2 v[24:25], v[2:3], off
	v_add_u32_e32 v12, -4, v0
	v_add_u32_e32 v3, v34, v1
	v_mul_lo_u32 v1, v1, s15
	v_lshlrev_b64 v[26:27], 3, v[12:13]
	v_add_u32_e32 v9, v35, v1
	v_add_co_u32_e64 v26, s[4:5], s6, v26
	s_and_b64 vcc, exec, s[0:1]
	v_add_u32_e32 v22, -2, v0
	v_add_u32_e32 v30, -7, v0
	v_add_u32_e32 v2, -1, v0
	v_add_u32_e32 v28, -6, v0
	v_add_u32_e32 v12, -5, v0
	v_addc_co_u32_e64 v27, s[4:5], v11, v27, s[4:5]
	ds_write_b8 v3, v48
	s_waitcnt vmcnt(0)
	v_mul_f64 v[24:25], v[4:5], v[24:25]
	ds_write_b64 v9, v[24:25]
	v_add_u32_e32 v24, -3, v0
	s_cbranch_vccnz .LBB11_19
; %bb.18:                               ;   in Loop: Header=BB11_14 Depth=2
	v_lshlrev_b64 v[32:33], 3, v[12:13]
	v_mov_b32_e32 v11, s7
	v_add_co_u32_e32 v32, vcc, s6, v32
	v_mov_b32_e32 v23, v13
	v_addc_co_u32_e32 v33, vcc, v11, v33, vcc
	v_lshlrev_b64 v[52:53], 3, v[22:23]
	v_add_co_u32_e32 v52, vcc, s6, v52
	v_mov_b32_e32 v31, v13
	v_addc_co_u32_e32 v53, vcc, v11, v53, vcc
	v_lshlrev_b64 v[54:55], 3, v[30:31]
	v_add_co_u32_e32 v54, vcc, s6, v54
	v_mov_b32_e32 v3, v13
	v_addc_co_u32_e32 v55, vcc, v11, v55, vcc
	global_load_dwordx2 v[56:57], v[52:53], off
	global_load_dwordx2 v[58:59], v[54:55], off
	;; [unrolled: 1-line block ×4, first 2 shown]
	v_lshlrev_b64 v[32:33], 3, v[2:3]
	v_add_co_u32_e32 v32, vcc, s6, v32
	v_mov_b32_e32 v29, v13
	v_addc_co_u32_e32 v33, vcc, v11, v33, vcc
	v_lshlrev_b64 v[52:53], 3, v[28:29]
	v_add_co_u32_e32 v52, vcc, s6, v52
	v_mov_b32_e32 v25, v13
	v_addc_co_u32_e32 v53, vcc, v11, v53, vcc
	;; [unrolled: 4-line block ×3, first 2 shown]
	v_lshlrev_b64 v[64:65], 3, v[0:1]
	v_add_co_u32_e32 v64, vcc, s6, v64
	v_addc_co_u32_e32 v65, vcc, v11, v65, vcc
	global_load_dwordx2 v[66:67], v[32:33], off
	global_load_dwordx2 v[68:69], v[52:53], off
	;; [unrolled: 1-line block ×4, first 2 shown]
	s_waitcnt vmcnt(7)
	v_mul_f64 v[52:53], v[4:5], v[56:57]
	s_waitcnt vmcnt(6)
	v_mul_f64 v[54:55], v[4:5], v[58:59]
	;; [unrolled: 2-line block ×8, first 2 shown]
	ds_write2_b64 v9, v[32:33], v[52:53] offset0:1 offset1:2
	ds_write2_b64 v9, v[54:55], v[56:57] offset0:3 offset1:4
	;; [unrolled: 1-line block ×4, first 2 shown]
	s_cbranch_execz .LBB11_20
	s_branch .LBB11_21
.LBB11_19:                              ;   in Loop: Header=BB11_14 Depth=2
.LBB11_20:                              ;   in Loop: Header=BB11_14 Depth=2
	v_mov_b32_e32 v31, v13
	v_lshlrev_b64 v[30:31], 3, v[30:31]
	v_mov_b32_e32 v11, s7
	v_add_co_u32_e32 v30, vcc, s6, v30
	v_mov_b32_e32 v29, v13
	v_addc_co_u32_e32 v31, vcc, v11, v31, vcc
	v_lshlrev_b64 v[28:29], 3, v[28:29]
	v_add_co_u32_e32 v28, vcc, s6, v28
	v_addc_co_u32_e32 v29, vcc, v11, v29, vcc
	v_lshlrev_b64 v[32:33], 3, v[12:13]
	v_add_co_u32_e32 v32, vcc, s6, v32
	v_mov_b32_e32 v25, v13
	v_addc_co_u32_e32 v33, vcc, v11, v33, vcc
	v_lshlrev_b64 v[24:25], 3, v[24:25]
	v_add_co_u32_e32 v24, vcc, s6, v24
	v_mov_b32_e32 v23, v13
	;; [unrolled: 4-line block ×4, first 2 shown]
	global_load_dwordx2 v[52:53], v[28:29], off
	global_load_dwordx2 v[54:55], v[32:33], off
	;; [unrolled: 1-line block ×4, first 2 shown]
	v_addc_co_u32_e32 v3, vcc, v11, v3, vcc
	v_lshlrev_b64 v[26:27], 3, v[0:1]
	v_add_co_u32_e32 v26, vcc, s6, v26
	v_addc_co_u32_e32 v27, vcc, v11, v27, vcc
	global_load_dwordx2 v[28:29], v[24:25], off
	global_load_dwordx2 v[30:31], v[22:23], off
	;; [unrolled: 1-line block ×4, first 2 shown]
	s_waitcnt vmcnt(7)
	v_mul_f64 v[22:23], v[4:5], v[52:53]
	s_waitcnt vmcnt(6)
	v_mul_f64 v[24:25], v[4:5], v[54:55]
	;; [unrolled: 2-line block ×8, first 2 shown]
	ds_write2_b64 v9, v[2:3], v[22:23] offset0:1 offset1:2
	ds_write2_b64 v9, v[24:25], v[26:27] offset0:3 offset1:4
	;; [unrolled: 1-line block ×4, first 2 shown]
.LBB11_21:                              ;   in Loop: Header=BB11_14 Depth=2
	s_or_b64 exec, exec, s[28:29]
	s_mov_b64 s[4:5], -1
	s_and_saveexec_b64 s[28:29], s[2:3]
	s_cbranch_execz .LBB11_13
; %bb.22:                               ;   in Loop: Header=BB11_14 Depth=2
	v_add_u32_e32 v8, 64, v8
	v_cmp_ge_i32_e32 vcc, v8, v36
	v_add_u32_e32 v0, 0x240, v0
	s_orn2_b64 s[4:5], vcc, exec
	s_branch .LBB11_13
.LBB11_23:                              ;   in Loop: Header=BB11_11 Depth=1
	s_or_b64 exec, exec, s[20:21]
.LBB11_24:                              ;   in Loop: Header=BB11_11 Depth=1
	s_or_b64 exec, exec, s[12:13]
	v_cmp_lt_i32_e32 vcc, v10, v37
	s_waitcnt lgkmcnt(0)
	s_and_saveexec_b64 s[12:13], vcc
	s_cbranch_execz .LBB11_37
; %bb.25:                               ;   in Loop: Header=BB11_11 Depth=1
	v_mad_u64_u32 v[22:23], s[2:3], v10, 9, 8
	s_mov_b64 s[20:21], 0
	s_branch .LBB11_27
.LBB11_26:                              ;   in Loop: Header=BB11_27 Depth=2
	s_or_b64 exec, exec, s[28:29]
	s_and_b64 s[2:3], exec, s[4:5]
	s_or_b64 s[20:21], s[2:3], s[20:21]
	s_andn2_b64 exec, exec, s[20:21]
	s_cbranch_execz .LBB11_36
.LBB11_27:                              ;   Parent Loop BB11_11 Depth=1
                                        ; =>  This Inner Loop Header: Depth=2
	v_ashrrev_i32_e32 v11, 31, v10
	v_lshlrev_b64 v[0:1], 2, v[10:11]
	v_mov_b32_e32 v2, s23
	v_add_co_u32_e32 v0, vcc, s22, v0
	v_addc_co_u32_e32 v1, vcc, v2, v1, vcc
	global_load_dword v0, v[0:1], off
	s_waitcnt vmcnt(0)
	v_subrev_u32_e32 v1, s9, v0
	v_sub_u32_e32 v0, v1, v50
	v_cmp_gt_u32_e64 s[2:3], 64, v0
	v_cmp_lt_u32_e32 vcc, 63, v0
	s_and_saveexec_b64 s[4:5], vcc
	s_xor_b64 s[4:5], exec, s[4:5]
; %bb.28:                               ;   in Loop: Header=BB11_27 Depth=2
	v_min_i32_e32 v49, v1, v49
                                        ; implicit-def: $vgpr0
; %bb.29:                               ;   in Loop: Header=BB11_27 Depth=2
	s_andn2_saveexec_b64 s[28:29], s[4:5]
	s_cbranch_execz .LBB11_34
; %bb.30:                               ;   in Loop: Header=BB11_27 Depth=2
	v_add_u32_e32 v12, -8, v22
	v_lshlrev_b64 v[2:3], 3, v[12:13]
	v_mov_b32_e32 v11, s17
	v_add_co_u32_e32 v2, vcc, s16, v2
	v_addc_co_u32_e32 v3, vcc, v11, v3, vcc
	global_load_dwordx2 v[52:53], v[2:3], off
	v_add_u32_e32 v1, v34, v0
	v_mul_lo_u32 v0, v0, s15
	v_add_u32_e32 v9, v35, v0
	ds_write_b8 v1, v48
	ds_read2_b64 v[0:3], v9 offset1:1
	v_add_u32_e32 v12, -4, v22
	v_lshlrev_b64 v[28:29], 3, v[12:13]
	v_add_co_u32_e64 v28, s[4:5], s16, v28
	s_and_b64 vcc, exec, s[0:1]
	v_add_u32_e32 v26, -2, v22
	v_add_u32_e32 v32, -7, v22
	v_add_u32_e32 v24, -1, v22
	v_add_u32_e32 v30, -6, v22
	v_add_u32_e32 v12, -5, v22
	v_addc_co_u32_e64 v29, s[4:5], v11, v29, s[4:5]
	s_waitcnt vmcnt(0) lgkmcnt(0)
	v_fmac_f64_e32 v[0:1], v[6:7], v[52:53]
	ds_write_b64 v9, v[0:1]
	v_add_u32_e32 v0, -3, v22
	s_cbranch_vccnz .LBB11_32
; %bb.31:                               ;   in Loop: Header=BB11_27 Depth=2
	v_lshlrev_b64 v[52:53], 3, v[12:13]
	v_mov_b32_e32 v11, s17
	v_add_co_u32_e32 v52, vcc, s16, v52
	v_mov_b32_e32 v27, v13
	v_addc_co_u32_e32 v53, vcc, v11, v53, vcc
	v_lshlrev_b64 v[54:55], 3, v[26:27]
	v_add_co_u32_e32 v54, vcc, s16, v54
	v_mov_b32_e32 v33, v13
	v_addc_co_u32_e32 v55, vcc, v11, v55, vcc
	v_lshlrev_b64 v[56:57], 3, v[32:33]
	;; [unrolled: 4-line block ×3, first 2 shown]
	v_add_co_u32_e32 v58, vcc, s16, v58
	v_mov_b32_e32 v31, v13
	global_load_dwordx2 v[64:65], v[28:29], off
	v_addc_co_u32_e32 v59, vcc, v11, v59, vcc
	global_load_dwordx2 v[66:67], v[52:53], off
	global_load_dwordx2 v[68:69], v[54:55], off
	;; [unrolled: 1-line block ×4, first 2 shown]
	v_lshlrev_b64 v[52:53], 3, v[30:31]
	v_add_co_u32_e32 v52, vcc, s16, v52
	v_mov_b32_e32 v1, v13
	v_addc_co_u32_e32 v53, vcc, v11, v53, vcc
	v_lshlrev_b64 v[54:55], 3, v[0:1]
	v_add_co_u32_e32 v54, vcc, s16, v54
	v_mov_b32_e32 v23, v13
	v_addc_co_u32_e32 v55, vcc, v11, v55, vcc
	v_lshlrev_b64 v[56:57], 3, v[22:23]
	v_add_co_u32_e32 v56, vcc, s16, v56
	v_addc_co_u32_e32 v57, vcc, v11, v57, vcc
	global_load_dwordx2 v[74:75], v[52:53], off
	global_load_dwordx2 v[76:77], v[54:55], off
	;; [unrolled: 1-line block ×3, first 2 shown]
	ds_read2_b64 v[52:55], v9 offset0:4 offset1:5
	ds_read2_b64 v[56:59], v9 offset0:2 offset1:3
	;; [unrolled: 1-line block ×3, first 2 shown]
	ds_read_b64 v[80:81], v9 offset:64
	s_waitcnt vmcnt(7) lgkmcnt(3)
	v_fmac_f64_e32 v[52:53], v[6:7], v[64:65]
	s_waitcnt vmcnt(6)
	v_fma_f64 v[64:65], v[6:7], v[66:67], v[2:3]
	s_waitcnt vmcnt(5) lgkmcnt(2)
	v_fmac_f64_e32 v[56:57], v[6:7], v[68:69]
	s_waitcnt vmcnt(4)
	v_fmac_f64_e32 v[58:59], v[6:7], v[70:71]
	s_waitcnt vmcnt(3)
	v_fmac_f64_e32 v[54:55], v[6:7], v[72:73]
	s_waitcnt vmcnt(2) lgkmcnt(1)
	v_fmac_f64_e32 v[60:61], v[6:7], v[74:75]
	s_waitcnt vmcnt(1)
	v_fmac_f64_e32 v[62:63], v[6:7], v[76:77]
	s_waitcnt vmcnt(0) lgkmcnt(0)
	v_fmac_f64_e32 v[80:81], v[6:7], v[78:79]
	ds_write2_b64 v9, v[64:65], v[56:57] offset0:1 offset1:2
	ds_write2_b64 v9, v[58:59], v[52:53] offset0:3 offset1:4
	;; [unrolled: 1-line block ×4, first 2 shown]
	s_cbranch_execz .LBB11_33
	s_branch .LBB11_34
.LBB11_32:                              ;   in Loop: Header=BB11_27 Depth=2
.LBB11_33:                              ;   in Loop: Header=BB11_27 Depth=2
	v_mov_b32_e32 v33, v13
	v_lshlrev_b64 v[32:33], 3, v[32:33]
	v_mov_b32_e32 v11, s17
	v_add_co_u32_e32 v32, vcc, s16, v32
	v_mov_b32_e32 v31, v13
	v_addc_co_u32_e32 v33, vcc, v11, v33, vcc
	v_lshlrev_b64 v[30:31], 3, v[30:31]
	v_add_co_u32_e32 v30, vcc, s16, v30
	v_addc_co_u32_e32 v31, vcc, v11, v31, vcc
	v_lshlrev_b64 v[52:53], 3, v[12:13]
	v_add_co_u32_e32 v52, vcc, s16, v52
	v_mov_b32_e32 v1, v13
	v_addc_co_u32_e32 v53, vcc, v11, v53, vcc
	v_lshlrev_b64 v[0:1], 3, v[0:1]
	v_add_co_u32_e32 v0, vcc, s16, v0
	v_addc_co_u32_e32 v1, vcc, v11, v1, vcc
	v_mov_b32_e32 v27, v13
	global_load_dwordx2 v[56:57], v[28:29], off
	global_load_dwordx2 v[58:59], v[32:33], off
	;; [unrolled: 1-line block ×5, first 2 shown]
	v_lshlrev_b64 v[0:1], 3, v[26:27]
	v_add_co_u32_e32 v0, vcc, s16, v0
	v_mov_b32_e32 v25, v13
	v_addc_co_u32_e32 v1, vcc, v11, v1, vcc
	v_lshlrev_b64 v[24:25], 3, v[24:25]
	v_add_co_u32_e32 v24, vcc, s16, v24
	v_mov_b32_e32 v23, v13
	v_addc_co_u32_e32 v25, vcc, v11, v25, vcc
	v_lshlrev_b64 v[26:27], 3, v[22:23]
	v_add_co_u32_e32 v26, vcc, s16, v26
	v_addc_co_u32_e32 v27, vcc, v11, v27, vcc
	global_load_dwordx2 v[32:33], v[0:1], off
	global_load_dwordx2 v[66:67], v[24:25], off
	;; [unrolled: 1-line block ×3, first 2 shown]
	ds_read2_b64 v[24:27], v9 offset0:4 offset1:5
	ds_read2_b64 v[28:31], v9 offset0:2 offset1:3
	;; [unrolled: 1-line block ×3, first 2 shown]
	ds_read_b64 v[0:1], v9 offset:64
	s_waitcnt vmcnt(6)
	v_fmac_f64_e32 v[2:3], v[6:7], v[58:59]
	s_waitcnt vmcnt(5) lgkmcnt(2)
	v_fmac_f64_e32 v[28:29], v[6:7], v[60:61]
	v_fmac_f64_e32 v[24:25], v[6:7], v[56:57]
	s_waitcnt vmcnt(4)
	v_fmac_f64_e32 v[30:31], v[6:7], v[62:63]
	s_waitcnt vmcnt(3)
	v_fmac_f64_e32 v[26:27], v[6:7], v[64:65]
	s_waitcnt vmcnt(2) lgkmcnt(1)
	v_fmac_f64_e32 v[52:53], v[6:7], v[32:33]
	s_waitcnt vmcnt(1)
	v_fmac_f64_e32 v[54:55], v[6:7], v[66:67]
	s_waitcnt vmcnt(0) lgkmcnt(0)
	v_fmac_f64_e32 v[0:1], v[6:7], v[68:69]
	v_mov_b32_e32 v32, v52
	v_mov_b32_e32 v33, v53
	;; [unrolled: 1-line block ×4, first 2 shown]
	ds_write2_b64 v9, v[2:3], v[28:29] offset0:1 offset1:2
	ds_write2_b64 v9, v[30:31], v[24:25] offset0:3 offset1:4
	ds_write2_b64 v9, v[26:27], v[32:33] offset0:5 offset1:6
	ds_write2_b64 v9, v[52:53], v[0:1] offset0:7 offset1:8
.LBB11_34:                              ;   in Loop: Header=BB11_27 Depth=2
	s_or_b64 exec, exec, s[28:29]
	s_mov_b64 s[4:5], -1
	s_and_saveexec_b64 s[28:29], s[2:3]
	s_cbranch_execz .LBB11_26
; %bb.35:                               ;   in Loop: Header=BB11_27 Depth=2
	v_add_u32_e32 v10, 64, v10
	v_cmp_ge_i32_e32 vcc, v10, v37
	v_add_u32_e32 v22, 0x240, v22
	s_orn2_b64 s[4:5], vcc, exec
	s_branch .LBB11_26
.LBB11_36:                              ;   in Loop: Header=BB11_11 Depth=1
	s_or_b64 exec, exec, s[20:21]
.LBB11_37:                              ;   in Loop: Header=BB11_11 Depth=1
	s_or_b64 exec, exec, s[12:13]
	s_waitcnt lgkmcnt(0)
	ds_read_u8 v0, v47
	s_waitcnt lgkmcnt(0)
	v_and_b32_e32 v1, 1, v0
	v_cmp_eq_u32_e64 s[2:3], 1, v1
	v_cmp_ne_u16_e32 vcc, 0, v0
	s_and_saveexec_b64 s[4:5], s[2:3]
	s_cbranch_execz .LBB11_10
; %bb.38:                               ;   in Loop: Header=BB11_11 Depth=1
	v_and_b32_e32 v1, vcc_lo, v14
	v_and_b32_e32 v0, vcc_hi, v15
	v_bcnt_u32_b32 v1, v1, 0
	v_bcnt_u32_b32 v0, v0, v1
	v_add3_u32 v0, v38, v0, -1
	v_ashrrev_i32_e32 v1, 31, v0
	v_lshlrev_b64 v[2:3], 2, v[0:1]
	v_mov_b32_e32 v1, s25
	v_add_co_u32_e64 v2, s[2:3], s24, v2
	v_add_u32_e32 v9, v40, v50
	v_addc_co_u32_e64 v3, s[2:3], v1, v3, s[2:3]
	global_store_dword v[2:3], v9, off
	v_lshl_add_u32 v12, v0, 3, v0
	ds_read2_b64 v[0:3], v39 offset1:4
	v_lshlrev_b64 v[22:23], 3, v[12:13]
	v_mov_b32_e32 v9, s27
	v_add_co_u32_e64 v22, s[2:3], s26, v22
	v_addc_co_u32_e64 v23, s[2:3], v9, v23, s[2:3]
	s_waitcnt lgkmcnt(0)
	global_store_dwordx2 v[22:23], v[0:1], off
	v_add_u32_e32 v0, 1, v12
	v_mov_b32_e32 v1, v13
	v_lshlrev_b64 v[0:1], 3, v[0:1]
	v_add_co_u32_e64 v0, s[2:3], s26, v0
	v_add_u32_e32 v22, 2, v12
	v_mov_b32_e32 v23, v13
	v_addc_co_u32_e64 v1, s[2:3], v9, v1, s[2:3]
	v_lshlrev_b64 v[22:23], 3, v[22:23]
	v_add_co_u32_e64 v22, s[2:3], s26, v22
	v_add_u32_e32 v24, 3, v12
	v_mov_b32_e32 v25, v13
	v_addc_co_u32_e64 v23, s[2:3], v9, v23, s[2:3]
	;; [unrolled: 5-line block ×6, first 2 shown]
	v_lshlrev_b64 v[32:33], 3, v[32:33]
	v_add_co_u32_e64 v32, s[2:3], s26, v32
	v_add_u32_e32 v12, 8, v12
	v_addc_co_u32_e64 v33, s[2:3], v9, v33, s[2:3]
	v_lshlrev_b64 v[50:51], 3, v[12:13]
	v_add_co_u32_e64 v50, s[2:3], s26, v50
	v_addc_co_u32_e64 v51, s[2:3], v9, v51, s[2:3]
	v_add_u32_e32 v9, s30, v39
	v_add_u32_e32 v11, s31, v39
	ds_read_b64 v[52:53], v9
	ds_read_b64 v[54:55], v11
	v_add_u32_e32 v9, s33, v39
	ds_read_b64 v[56:57], v9
	ds_read_b64 v[58:59], v39 offset:64
	s_waitcnt lgkmcnt(3)
	global_store_dwordx2 v[0:1], v[52:53], off
	s_waitcnt lgkmcnt(2)
	global_store_dwordx2 v[22:23], v[54:55], off
	v_add_u32_e32 v0, s34, v39
	v_add_u32_e32 v9, s35, v39
	;; [unrolled: 1-line block ×3, first 2 shown]
	ds_read_b64 v[0:1], v0
	ds_read_b64 v[22:23], v9
	;; [unrolled: 1-line block ×3, first 2 shown]
	s_waitcnt lgkmcnt(4)
	global_store_dwordx2 v[24:25], v[56:57], off
	global_store_dwordx2 v[26:27], v[2:3], off
	s_waitcnt lgkmcnt(2)
	global_store_dwordx2 v[28:29], v[0:1], off
	s_waitcnt lgkmcnt(1)
	;; [unrolled: 2-line block ×3, first 2 shown]
	global_store_dwordx2 v[32:33], v[52:53], off
	global_store_dwordx2 v[50:51], v[58:59], off
	s_branch .LBB11_10
.LBB11_39:
	s_endpgm
	.section	.rodata,"a",@progbits
	.p2align	6, 0x0
	.amdhsa_kernel _ZN9rocsparseL39bsrgeam_wf_per_row_multipass_2_3_kernelILj256ELj3ELj64EdEEv20rocsparse_direction_iiiNS_24const_host_device_scalarIT2_EEPKiS6_PKS3_S4_S6_S6_S8_S6_PiPS3_21rocsparse_index_base_SB_SB_b
		.amdhsa_group_segment_fixed_size 18688
		.amdhsa_private_segment_fixed_size 0
		.amdhsa_kernarg_size 120
		.amdhsa_user_sgpr_count 6
		.amdhsa_user_sgpr_private_segment_buffer 1
		.amdhsa_user_sgpr_dispatch_ptr 0
		.amdhsa_user_sgpr_queue_ptr 0
		.amdhsa_user_sgpr_kernarg_segment_ptr 1
		.amdhsa_user_sgpr_dispatch_id 0
		.amdhsa_user_sgpr_flat_scratch_init 0
		.amdhsa_user_sgpr_kernarg_preload_length 0
		.amdhsa_user_sgpr_kernarg_preload_offset 0
		.amdhsa_user_sgpr_private_segment_size 0
		.amdhsa_uses_dynamic_stack 0
		.amdhsa_system_sgpr_private_segment_wavefront_offset 0
		.amdhsa_system_sgpr_workgroup_id_x 1
		.amdhsa_system_sgpr_workgroup_id_y 0
		.amdhsa_system_sgpr_workgroup_id_z 0
		.amdhsa_system_sgpr_workgroup_info 0
		.amdhsa_system_vgpr_workitem_id 0
		.amdhsa_next_free_vgpr 82
		.amdhsa_next_free_sgpr 37
		.amdhsa_accum_offset 84
		.amdhsa_reserve_vcc 1
		.amdhsa_reserve_flat_scratch 0
		.amdhsa_float_round_mode_32 0
		.amdhsa_float_round_mode_16_64 0
		.amdhsa_float_denorm_mode_32 3
		.amdhsa_float_denorm_mode_16_64 3
		.amdhsa_dx10_clamp 1
		.amdhsa_ieee_mode 1
		.amdhsa_fp16_overflow 0
		.amdhsa_tg_split 0
		.amdhsa_exception_fp_ieee_invalid_op 0
		.amdhsa_exception_fp_denorm_src 0
		.amdhsa_exception_fp_ieee_div_zero 0
		.amdhsa_exception_fp_ieee_overflow 0
		.amdhsa_exception_fp_ieee_underflow 0
		.amdhsa_exception_fp_ieee_inexact 0
		.amdhsa_exception_int_div_zero 0
	.end_amdhsa_kernel
	.section	.text._ZN9rocsparseL39bsrgeam_wf_per_row_multipass_2_3_kernelILj256ELj3ELj64EdEEv20rocsparse_direction_iiiNS_24const_host_device_scalarIT2_EEPKiS6_PKS3_S4_S6_S6_S8_S6_PiPS3_21rocsparse_index_base_SB_SB_b,"axG",@progbits,_ZN9rocsparseL39bsrgeam_wf_per_row_multipass_2_3_kernelILj256ELj3ELj64EdEEv20rocsparse_direction_iiiNS_24const_host_device_scalarIT2_EEPKiS6_PKS3_S4_S6_S6_S8_S6_PiPS3_21rocsparse_index_base_SB_SB_b,comdat
.Lfunc_end11:
	.size	_ZN9rocsparseL39bsrgeam_wf_per_row_multipass_2_3_kernelILj256ELj3ELj64EdEEv20rocsparse_direction_iiiNS_24const_host_device_scalarIT2_EEPKiS6_PKS3_S4_S6_S6_S8_S6_PiPS3_21rocsparse_index_base_SB_SB_b, .Lfunc_end11-_ZN9rocsparseL39bsrgeam_wf_per_row_multipass_2_3_kernelILj256ELj3ELj64EdEEv20rocsparse_direction_iiiNS_24const_host_device_scalarIT2_EEPKiS6_PKS3_S4_S6_S6_S8_S6_PiPS3_21rocsparse_index_base_SB_SB_b
                                        ; -- End function
	.section	.AMDGPU.csdata,"",@progbits
; Kernel info:
; codeLenInByte = 3444
; NumSgprs: 41
; NumVgprs: 82
; NumAgprs: 0
; TotalNumVgprs: 82
; ScratchSize: 0
; MemoryBound: 0
; FloatMode: 240
; IeeeMode: 1
; LDSByteSize: 18688 bytes/workgroup (compile time only)
; SGPRBlocks: 5
; VGPRBlocks: 10
; NumSGPRsForWavesPerEU: 41
; NumVGPRsForWavesPerEU: 82
; AccumOffset: 84
; Occupancy: 3
; WaveLimiterHint : 1
; COMPUTE_PGM_RSRC2:SCRATCH_EN: 0
; COMPUTE_PGM_RSRC2:USER_SGPR: 6
; COMPUTE_PGM_RSRC2:TRAP_HANDLER: 0
; COMPUTE_PGM_RSRC2:TGID_X_EN: 1
; COMPUTE_PGM_RSRC2:TGID_Y_EN: 0
; COMPUTE_PGM_RSRC2:TGID_Z_EN: 0
; COMPUTE_PGM_RSRC2:TIDIG_COMP_CNT: 0
; COMPUTE_PGM_RSRC3_GFX90A:ACCUM_OFFSET: 20
; COMPUTE_PGM_RSRC3_GFX90A:TG_SPLIT: 0
	.section	.text._ZN9rocsparseL35bsrgeam_wf_per_row_multipass_kernelILj64ELj4EdEEv20rocsparse_direction_iiiNS_24const_host_device_scalarIT1_EEPKiS6_PKS3_S4_S6_S6_S8_S6_PiPS3_21rocsparse_index_base_SB_SB_b,"axG",@progbits,_ZN9rocsparseL35bsrgeam_wf_per_row_multipass_kernelILj64ELj4EdEEv20rocsparse_direction_iiiNS_24const_host_device_scalarIT1_EEPKiS6_PKS3_S4_S6_S6_S8_S6_PiPS3_21rocsparse_index_base_SB_SB_b,comdat
	.globl	_ZN9rocsparseL35bsrgeam_wf_per_row_multipass_kernelILj64ELj4EdEEv20rocsparse_direction_iiiNS_24const_host_device_scalarIT1_EEPKiS6_PKS3_S4_S6_S6_S8_S6_PiPS3_21rocsparse_index_base_SB_SB_b ; -- Begin function _ZN9rocsparseL35bsrgeam_wf_per_row_multipass_kernelILj64ELj4EdEEv20rocsparse_direction_iiiNS_24const_host_device_scalarIT1_EEPKiS6_PKS3_S4_S6_S6_S8_S6_PiPS3_21rocsparse_index_base_SB_SB_b
	.p2align	8
	.type	_ZN9rocsparseL35bsrgeam_wf_per_row_multipass_kernelILj64ELj4EdEEv20rocsparse_direction_iiiNS_24const_host_device_scalarIT1_EEPKiS6_PKS3_S4_S6_S6_S8_S6_PiPS3_21rocsparse_index_base_SB_SB_b,@function
_ZN9rocsparseL35bsrgeam_wf_per_row_multipass_kernelILj64ELj4EdEEv20rocsparse_direction_iiiNS_24const_host_device_scalarIT1_EEPKiS6_PKS3_S4_S6_S6_S8_S6_PiPS3_21rocsparse_index_base_SB_SB_b: ; @_ZN9rocsparseL35bsrgeam_wf_per_row_multipass_kernelILj64ELj4EdEEv20rocsparse_direction_iiiNS_24const_host_device_scalarIT1_EEPKiS6_PKS3_S4_S6_S6_S8_S6_PiPS3_21rocsparse_index_base_SB_SB_b
; %bb.0:
	s_load_dwordx4 s[8:11], s[4:5], 0x68
	s_load_dwordx2 s[12:13], s[4:5], 0x10
	s_load_dwordx2 s[0:1], s[4:5], 0x30
	s_waitcnt lgkmcnt(0)
	s_bitcmp1_b32 s11, 0
	s_cselect_b64 s[14:15], -1, 0
	s_xor_b64 s[2:3], s[14:15], -1
	s_and_b64 vcc, exec, s[14:15]
	v_pk_mov_b32 v[2:3], s[12:13], s[12:13] op_sel:[0,1]
	s_cbranch_vccnz .LBB12_2
; %bb.1:
	v_pk_mov_b32 v[2:3], s[12:13], s[12:13] op_sel:[0,1]
	flat_load_dwordx2 v[2:3], v[2:3]
.LBB12_2:
	s_load_dwordx2 s[16:17], s[4:5], 0x18
	s_andn2_b64 vcc, exec, s[2:3]
	v_pk_mov_b32 v[4:5], s[0:1], s[0:1] op_sel:[0,1]
	s_cbranch_vccnz .LBB12_4
; %bb.3:
	v_pk_mov_b32 v[4:5], s[0:1], s[0:1] op_sel:[0,1]
	flat_load_dwordx2 v[4:5], v[4:5]
.LBB12_4:
	s_load_dwordx4 s[12:15], s[4:5], 0x0
	v_lshrrev_b32_e32 v18, 4, v0
	v_lshl_or_b32 v12, s6, 2, v18
	v_mov_b32_e32 v1, 0
	v_ashrrev_i32_e32 v13, 31, v12
	s_waitcnt lgkmcnt(0)
	v_cmp_le_i32_e32 vcc, s13, v12
	v_cmp_gt_i32_e64 s[0:1], s13, v12
	v_mov_b32_e32 v6, 0
	s_and_saveexec_b64 s[6:7], s[0:1]
	s_cbranch_execz .LBB12_6
; %bb.5:
	v_lshlrev_b64 v[6:7], 2, v[12:13]
	v_mov_b32_e32 v8, s17
	v_add_co_u32_e64 v6, s[2:3], s16, v6
	v_addc_co_u32_e64 v7, s[2:3], v8, v7, s[2:3]
	global_load_dword v6, v[6:7], off
	s_waitcnt vmcnt(0)
	v_subrev_u32_e32 v6, s8, v6
.LBB12_6:
	s_or_b64 exec, exec, s[6:7]
	s_load_dwordx2 s[6:7], s[4:5], 0x38
	s_and_saveexec_b64 s[18:19], s[0:1]
	s_cbranch_execz .LBB12_8
; %bb.7:
	v_lshlrev_b64 v[8:9], 2, v[12:13]
	v_mov_b32_e32 v1, s17
	v_add_co_u32_e64 v8, s[2:3], s16, v8
	v_addc_co_u32_e64 v9, s[2:3], v1, v9, s[2:3]
	global_load_dword v1, v[8:9], off offset:4
	s_waitcnt vmcnt(0)
	v_subrev_u32_e32 v1, s8, v1
.LBB12_8:
	s_or_b64 exec, exec, s[18:19]
	v_mov_b32_e32 v15, 0
	v_mov_b32_e32 v8, 0
	s_and_saveexec_b64 s[16:17], s[0:1]
	s_cbranch_execz .LBB12_10
; %bb.9:
	v_lshlrev_b64 v[8:9], 2, v[12:13]
	s_waitcnt lgkmcnt(0)
	v_mov_b32_e32 v7, s7
	v_add_co_u32_e64 v8, s[2:3], s6, v8
	v_addc_co_u32_e64 v9, s[2:3], v7, v9, s[2:3]
	global_load_dword v7, v[8:9], off
	s_waitcnt vmcnt(0)
	v_subrev_u32_e32 v8, s9, v7
.LBB12_10:
	s_or_b64 exec, exec, s[16:17]
	s_and_saveexec_b64 s[16:17], s[0:1]
	s_cbranch_execz .LBB12_12
; %bb.11:
	v_lshlrev_b64 v[10:11], 2, v[12:13]
	s_waitcnt lgkmcnt(0)
	v_mov_b32_e32 v7, s7
	v_add_co_u32_e64 v10, s[2:3], s6, v10
	v_addc_co_u32_e64 v11, s[2:3], v7, v11, s[2:3]
	global_load_dword v7, v[10:11], off offset:4
	s_waitcnt vmcnt(0)
	v_subrev_u32_e32 v15, s9, v7
.LBB12_12:
	s_or_b64 exec, exec, s[16:17]
	s_load_dwordx2 s[20:21], s[4:5], 0x20
	v_mov_b32_e32 v10, 0
	s_and_saveexec_b64 s[2:3], s[0:1]
	s_cbranch_execz .LBB12_14
; %bb.13:
	s_load_dwordx2 s[0:1], s[4:5], 0x50
	v_lshlrev_b64 v[10:11], 2, v[12:13]
	s_waitcnt lgkmcnt(0)
	v_mov_b32_e32 v7, s1
	v_add_co_u32_e64 v10, s[0:1], s0, v10
	v_addc_co_u32_e64 v11, s[0:1], v7, v11, s[0:1]
	global_load_dword v7, v[10:11], off
	s_waitcnt vmcnt(0)
	v_subrev_u32_e32 v10, s10, v7
.LBB12_14:
	s_or_b64 exec, exec, s[2:3]
	s_load_dwordx2 s[22:23], s[4:5], 0x40
	v_cmp_lt_i32_e64 s[0:1], v6, v1
	v_mov_b32_e32 v7, s14
	s_and_saveexec_b64 s[2:3], s[0:1]
	s_cbranch_execz .LBB12_16
; %bb.15:
	v_ashrrev_i32_e32 v7, 31, v6
	v_lshlrev_b64 v[12:13], 2, v[6:7]
	s_waitcnt lgkmcnt(0)
	v_mov_b32_e32 v7, s21
	v_add_co_u32_e64 v12, s[0:1], s20, v12
	v_addc_co_u32_e64 v13, s[0:1], v7, v13, s[0:1]
	global_load_dword v7, v[12:13], off
	s_waitcnt vmcnt(0)
	v_subrev_u32_e32 v7, s8, v7
.LBB12_16:
	s_or_b64 exec, exec, s[2:3]
	v_cmp_lt_i32_e64 s[0:1], v8, v15
	v_mov_b32_e32 v9, s14
	s_and_saveexec_b64 s[2:3], s[0:1]
	s_cbranch_execz .LBB12_18
; %bb.17:
	v_ashrrev_i32_e32 v9, 31, v8
	v_lshlrev_b64 v[12:13], 2, v[8:9]
	s_waitcnt lgkmcnt(0)
	v_mov_b32_e32 v9, s23
	v_add_co_u32_e64 v12, s[0:1], s22, v12
	v_addc_co_u32_e64 v13, s[0:1], v9, v13, s[0:1]
	global_load_dword v9, v[12:13], off
	s_waitcnt vmcnt(0)
	v_subrev_u32_e32 v9, s9, v9
.LBB12_18:
	s_or_b64 exec, exec, s[2:3]
	v_cndmask_b32_e64 v12, 0, 1, vcc
	v_lshlrev_b32_e32 v11, 2, v18
	ds_write_b32 v11, v12 offset:512
	v_mov_b32_e32 v12, 0
	s_waitcnt lgkmcnt(0)
	; wave barrier
	s_waitcnt lgkmcnt(0)
	ds_read_b32 v13, v12 offset:512
	s_waitcnt lgkmcnt(0)
	v_cmp_lt_u32_e32 vcc, 3, v13
	s_cbranch_vccnz .LBB12_58
; %bb.19:
	v_or_b32_e32 v17, 0x200, v11
	v_and_b32_e32 v14, 3, v0
	v_bfe_u32 v16, v0, 2, 2
	v_min_i32_e32 v11, v9, v7
	v_mov_b32_e32 v7, 0x210
	v_lshl_or_b32 v19, v18, 2, v7
	v_max_i32_e32 v7, v16, v14
	s_load_dwordx4 s[16:19], s[4:5], 0x58
	s_load_dwordx2 s[24:25], s[4:5], 0x28
	s_load_dwordx2 s[26:27], s[4:5], 0x48
	v_cmp_gt_i32_e64 s[0:1], s15, v7
	v_and_b32_e32 v7, 48, v0
	v_lshlrev_b32_e32 v9, 2, v16
	v_or3_b32 v9, v9, v7, v14
	v_lshlrev_b32_e32 v27, 3, v9
	v_lshlrev_b32_e32 v9, 2, v14
	s_cmp_eq_u32 s12, 0
	v_or3_b32 v7, v9, v7, v16
	v_lshlrev_b32_e32 v28, 3, v7
	s_cselect_b64 vcc, -1, 0
	s_cmp_lg_u32 s12, 0
	v_mov_b32_e32 v7, 0x200
	v_lshlrev_b32_e32 v26, 3, v0
	s_cselect_b64 s[12:13], -1, 0
	v_cmp_gt_u32_e64 s[2:3], 2, v0
	v_lshl_or_b32 v29, v0, 2, v7
	v_cmp_eq_u32_e64 s[4:5], 0, v0
	v_cndmask_b32_e32 v30, v27, v28, vcc
	v_cndmask_b32_e32 v0, v16, v14, vcc
	v_cndmask_b32_e32 v18, v14, v16, vcc
	s_mul_i32 s11, s15, s15
	v_mov_b32_e32 v13, v12
	v_mov_b32_e32 v31, 1
	s_branch .LBB12_21
.LBB12_20:                              ;   in Loop: Header=BB12_21 Depth=1
	s_or_b64 exec, exec, s[6:7]
	s_waitcnt lgkmcnt(0)
	; wave barrier
	s_waitcnt lgkmcnt(0)
	ds_read_b32 v9, v12 offset:512
	v_add_u32_e32 v10, 1, v10
	v_mov_b32_e32 v11, v7
	s_waitcnt lgkmcnt(0)
	v_cmp_gt_u32_e32 vcc, 4, v9
	s_cbranch_vccz .LBB12_58
.LBB12_21:                              ; =>This Loop Header: Depth=1
                                        ;     Child Loop BB12_24 Depth 2
                                        ;     Child Loop BB12_39 Depth 2
	v_cmp_lt_i32_e32 vcc, v6, v1
	v_mov_b32_e32 v7, s14
	ds_write_b32 v19, v12
	ds_write_b64 v26, v[12:13]
	s_waitcnt lgkmcnt(0)
	; wave barrier
	s_waitcnt lgkmcnt(0)
	s_and_saveexec_b64 s[28:29], vcc
	s_cbranch_execz .LBB12_36
; %bb.22:                               ;   in Loop: Header=BB12_21 Depth=1
	v_mul_lo_u32 v7, s15, v6
	v_add_u32_e32 v9, v14, v7
	v_add_u32_e32 v7, v16, v7
	v_mad_u64_u32 v[22:23], s[6:7], s15, v7, v[14:15]
	v_ashrrev_i32_e32 v7, 31, v6
	v_lshlrev_b64 v[24:25], 2, v[6:7]
	v_mov_b32_e32 v7, s21
	v_add_co_u32_e32 v24, vcc, s20, v24
	v_mad_u64_u32 v[20:21], s[6:7], s15, v9, v[16:17]
	v_addc_co_u32_e32 v25, vcc, v7, v25, vcc
	s_mov_b32 s33, 0
	s_mov_b64 s[30:31], 0
	v_mov_b32_e32 v7, s14
	s_branch .LBB12_24
.LBB12_23:                              ;   in Loop: Header=BB12_24 Depth=2
	s_or_b64 exec, exec, s[36:37]
	s_and_b64 s[6:7], exec, s[34:35]
	v_mov_b32_e32 v21, v6
	s_or_b64 s[30:31], s[6:7], s[30:31]
	v_mov_b32_e32 v6, v9
	s_andn2_b64 exec, exec, s[30:31]
	s_cbranch_execz .LBB12_35
.LBB12_24:                              ;   Parent Loop BB12_21 Depth=1
                                        ; =>  This Inner Loop Header: Depth=2
	global_load_dword v9, v[24:25], off
	s_waitcnt vmcnt(0)
	v_subrev_u32_e32 v9, s8, v9
	v_cmp_le_i32_e64 s[6:7], v9, v11
	s_and_saveexec_b64 s[34:35], s[6:7]
	s_xor_b64 s[34:35], exec, s[34:35]
	s_cbranch_execz .LBB12_28
; %bb.25:                               ;   in Loop: Header=BB12_24 Depth=2
	ds_write_b32 v19, v31
	s_and_saveexec_b64 s[36:37], s[0:1]
	s_cbranch_execz .LBB12_34
; %bb.26:                               ;   in Loop: Header=BB12_24 Depth=2
	s_and_b64 vcc, exec, s[12:13]
	s_cbranch_vccz .LBB12_32
; %bb.27:                               ;   in Loop: Header=BB12_24 Depth=2
	v_add_u32_e32 v32, s33, v22
	v_ashrrev_i32_e32 v33, 31, v32
	v_lshlrev_b64 v[32:33], 3, v[32:33]
	v_mov_b32_e32 v9, s25
	v_add_co_u32_e32 v32, vcc, s24, v32
	v_addc_co_u32_e32 v33, vcc, v9, v33, vcc
	global_load_dwordx2 v[32:33], v[32:33], off
	s_waitcnt vmcnt(0)
	v_mul_f64 v[32:33], v[2:3], v[32:33]
	ds_write_b64 v27, v[32:33]
	s_cbranch_execz .LBB12_33
	s_branch .LBB12_34
.LBB12_28:                              ;   in Loop: Header=BB12_24 Depth=2
	s_andn2_saveexec_b64 s[34:35], s[34:35]
.LBB12_29:                              ;   in Loop: Header=BB12_24 Depth=2
	v_min_i32_e32 v7, v9, v7
.LBB12_30:                              ;   in Loop: Header=BB12_24 Depth=2
	s_or_b64 exec, exec, s[34:35]
	s_mov_b64 s[34:35], -1
                                        ; implicit-def: $vgpr9
	s_and_saveexec_b64 s[36:37], s[6:7]
	s_cbranch_execz .LBB12_23
; %bb.31:                               ;   in Loop: Header=BB12_24 Depth=2
	v_add_co_u32_e32 v24, vcc, 4, v24
	v_add_u32_e32 v9, 1, v6
	v_addc_co_u32_e32 v25, vcc, 0, v25, vcc
	v_cmp_ge_i32_e32 vcc, v9, v1
	s_add_i32 s33, s33, s11
	s_orn2_b64 s[34:35], vcc, exec
	v_mov_b32_e32 v6, v1
	s_branch .LBB12_23
.LBB12_32:                              ;   in Loop: Header=BB12_24 Depth=2
.LBB12_33:                              ;   in Loop: Header=BB12_24 Depth=2
	v_add_u32_e32 v32, s33, v20
	v_ashrrev_i32_e32 v33, 31, v32
	v_lshlrev_b64 v[32:33], 3, v[32:33]
	v_mov_b32_e32 v9, s25
	v_add_co_u32_e32 v32, vcc, s24, v32
	v_addc_co_u32_e32 v33, vcc, v9, v33, vcc
	global_load_dwordx2 v[32:33], v[32:33], off
	s_waitcnt vmcnt(0)
	v_mul_f64 v[32:33], v[2:3], v[32:33]
	ds_write_b64 v28, v[32:33]
.LBB12_34:                              ;   in Loop: Header=BB12_24 Depth=2
	s_or_b64 exec, exec, s[36:37]
                                        ; implicit-def: $vgpr9
	s_andn2_saveexec_b64 s[34:35], s[34:35]
	s_cbranch_execz .LBB12_30
	s_branch .LBB12_29
.LBB12_35:                              ;   in Loop: Header=BB12_21 Depth=1
	s_or_b64 exec, exec, s[30:31]
	v_mov_b32_e32 v6, v21
.LBB12_36:                              ;   in Loop: Header=BB12_21 Depth=1
	s_or_b64 exec, exec, s[28:29]
	v_cmp_lt_i32_e32 vcc, v8, v15
	s_waitcnt lgkmcnt(0)
	; wave barrier
	s_waitcnt lgkmcnt(0)
	s_and_saveexec_b64 s[28:29], vcc
	s_cbranch_execz .LBB12_51
; %bb.37:                               ;   in Loop: Header=BB12_21 Depth=1
	v_mul_lo_u32 v9, s15, v8
	v_add_u32_e32 v20, v14, v9
	v_add_u32_e32 v9, v16, v9
	v_mad_u64_u32 v[22:23], s[6:7], s15, v9, v[14:15]
	v_ashrrev_i32_e32 v9, 31, v8
	v_lshlrev_b64 v[24:25], 2, v[8:9]
	v_mov_b32_e32 v9, s23
	v_add_co_u32_e32 v24, vcc, s22, v24
	v_mad_u64_u32 v[20:21], s[6:7], s15, v20, v[16:17]
	v_addc_co_u32_e32 v25, vcc, v9, v25, vcc
	s_mov_b32 s33, 0
	s_mov_b64 s[30:31], 0
	s_branch .LBB12_39
.LBB12_38:                              ;   in Loop: Header=BB12_39 Depth=2
	s_or_b64 exec, exec, s[36:37]
	s_and_b64 s[6:7], exec, s[34:35]
	v_mov_b32_e32 v21, v8
	s_or_b64 s[30:31], s[6:7], s[30:31]
	v_mov_b32_e32 v8, v9
	s_andn2_b64 exec, exec, s[30:31]
	s_cbranch_execz .LBB12_50
.LBB12_39:                              ;   Parent Loop BB12_21 Depth=1
                                        ; =>  This Inner Loop Header: Depth=2
	global_load_dword v9, v[24:25], off
	s_waitcnt vmcnt(0)
	v_subrev_u32_e32 v9, s9, v9
	v_cmp_le_i32_e64 s[6:7], v9, v11
	s_and_saveexec_b64 s[34:35], s[6:7]
	s_xor_b64 s[34:35], exec, s[34:35]
	s_cbranch_execz .LBB12_43
; %bb.40:                               ;   in Loop: Header=BB12_39 Depth=2
	ds_write_b32 v19, v31
	s_and_saveexec_b64 s[36:37], s[0:1]
	s_cbranch_execz .LBB12_49
; %bb.41:                               ;   in Loop: Header=BB12_39 Depth=2
	s_and_b64 vcc, exec, s[12:13]
	s_cbranch_vccz .LBB12_47
; %bb.42:                               ;   in Loop: Header=BB12_39 Depth=2
	v_add_u32_e32 v32, s33, v22
	v_ashrrev_i32_e32 v33, 31, v32
	v_lshlrev_b64 v[32:33], 3, v[32:33]
	v_mov_b32_e32 v9, s27
	v_add_co_u32_e32 v32, vcc, s26, v32
	v_addc_co_u32_e32 v33, vcc, v9, v33, vcc
	global_load_dwordx2 v[32:33], v[32:33], off
	ds_read_b64 v[34:35], v27
	s_waitcnt vmcnt(0) lgkmcnt(0)
	v_fmac_f64_e32 v[34:35], v[4:5], v[32:33]
	ds_write_b64 v27, v[34:35]
	s_cbranch_execz .LBB12_48
	s_branch .LBB12_49
.LBB12_43:                              ;   in Loop: Header=BB12_39 Depth=2
	s_andn2_saveexec_b64 s[34:35], s[34:35]
.LBB12_44:                              ;   in Loop: Header=BB12_39 Depth=2
	v_min_i32_e32 v7, v9, v7
.LBB12_45:                              ;   in Loop: Header=BB12_39 Depth=2
	s_or_b64 exec, exec, s[34:35]
	s_mov_b64 s[34:35], -1
                                        ; implicit-def: $vgpr9
	s_and_saveexec_b64 s[36:37], s[6:7]
	s_cbranch_execz .LBB12_38
; %bb.46:                               ;   in Loop: Header=BB12_39 Depth=2
	v_add_co_u32_e32 v24, vcc, 4, v24
	v_add_u32_e32 v9, 1, v8
	v_addc_co_u32_e32 v25, vcc, 0, v25, vcc
	v_cmp_ge_i32_e32 vcc, v9, v15
	s_add_i32 s33, s33, s11
	s_orn2_b64 s[34:35], vcc, exec
	v_mov_b32_e32 v8, v15
	s_branch .LBB12_38
.LBB12_47:                              ;   in Loop: Header=BB12_39 Depth=2
.LBB12_48:                              ;   in Loop: Header=BB12_39 Depth=2
	v_add_u32_e32 v32, s33, v20
	v_ashrrev_i32_e32 v33, 31, v32
	v_lshlrev_b64 v[32:33], 3, v[32:33]
	v_mov_b32_e32 v9, s27
	v_add_co_u32_e32 v32, vcc, s26, v32
	v_addc_co_u32_e32 v33, vcc, v9, v33, vcc
	global_load_dwordx2 v[32:33], v[32:33], off
	ds_read_b64 v[34:35], v28
	s_waitcnt vmcnt(0) lgkmcnt(0)
	v_fmac_f64_e32 v[34:35], v[4:5], v[32:33]
	ds_write_b64 v28, v[34:35]
.LBB12_49:                              ;   in Loop: Header=BB12_39 Depth=2
	s_or_b64 exec, exec, s[36:37]
                                        ; implicit-def: $vgpr9
	s_andn2_saveexec_b64 s[34:35], s[34:35]
	s_cbranch_execz .LBB12_45
	s_branch .LBB12_44
.LBB12_50:                              ;   in Loop: Header=BB12_21 Depth=1
	s_or_b64 exec, exec, s[30:31]
	v_mov_b32_e32 v8, v21
.LBB12_51:                              ;   in Loop: Header=BB12_21 Depth=1
	s_or_b64 exec, exec, s[28:29]
	s_waitcnt lgkmcnt(0)
	; wave barrier
	s_waitcnt lgkmcnt(0)
	ds_read_b32 v9, v19
	s_waitcnt lgkmcnt(0)
	v_cmp_ne_u32_e32 vcc, 0, v9
	s_and_saveexec_b64 s[6:7], vcc
	s_cbranch_execz .LBB12_54
; %bb.52:                               ;   in Loop: Header=BB12_21 Depth=1
	v_add_u32_e32 v9, s10, v11
	v_ashrrev_i32_e32 v11, 31, v10
	v_lshlrev_b64 v[20:21], 2, v[10:11]
	v_mov_b32_e32 v11, s17
	v_add_co_u32_e32 v20, vcc, s16, v20
	v_addc_co_u32_e32 v21, vcc, v11, v21, vcc
	global_store_dword v[20:21], v9, off
	s_and_b64 exec, exec, s[0:1]
	s_cbranch_execz .LBB12_54
; %bb.53:                               ;   in Loop: Header=BB12_21 Depth=1
	v_mad_u64_u32 v[22:23], s[28:29], v10, s15, v[0:1]
	ds_read_b64 v[20:21], v30
	v_mad_u64_u32 v[22:23], s[28:29], v22, s15, v[18:19]
	v_ashrrev_i32_e32 v23, 31, v22
	v_lshlrev_b64 v[22:23], 3, v[22:23]
	v_mov_b32_e32 v9, s19
	v_add_co_u32_e32 v22, vcc, s18, v22
	v_addc_co_u32_e32 v23, vcc, v9, v23, vcc
	s_waitcnt lgkmcnt(0)
	global_store_dwordx2 v[22:23], v[20:21], off
.LBB12_54:                              ;   in Loop: Header=BB12_21 Depth=1
	s_or_b64 exec, exec, s[6:7]
	v_cmp_le_i32_e32 vcc, s14, v7
	v_cndmask_b32_e64 v9, 0, 1, vcc
	s_waitcnt lgkmcnt(0)
	; wave barrier
	s_waitcnt lgkmcnt(0)
	s_waitcnt lgkmcnt(0)
	; wave barrier
	ds_write_b32 v17, v9
	s_waitcnt lgkmcnt(0)
	; wave barrier
	s_waitcnt lgkmcnt(0)
	s_and_saveexec_b64 s[6:7], s[2:3]
	s_cbranch_execz .LBB12_56
; %bb.55:                               ;   in Loop: Header=BB12_21 Depth=1
	ds_read2_b32 v[20:21], v29 offset1:2
	s_waitcnt lgkmcnt(0)
	v_add_u32_e32 v9, v21, v20
	ds_write_b32 v29, v9
.LBB12_56:                              ;   in Loop: Header=BB12_21 Depth=1
	s_or_b64 exec, exec, s[6:7]
	s_waitcnt lgkmcnt(0)
	; wave barrier
	s_waitcnt lgkmcnt(0)
	s_and_saveexec_b64 s[6:7], s[4:5]
	s_cbranch_execz .LBB12_20
; %bb.57:                               ;   in Loop: Header=BB12_21 Depth=1
	ds_read_b64 v[20:21], v12 offset:512
	s_waitcnt lgkmcnt(0)
	v_add_u32_e32 v9, v21, v20
	ds_write_b32 v12, v9 offset:512
	s_branch .LBB12_20
.LBB12_58:
	s_endpgm
	.section	.rodata,"a",@progbits
	.p2align	6, 0x0
	.amdhsa_kernel _ZN9rocsparseL35bsrgeam_wf_per_row_multipass_kernelILj64ELj4EdEEv20rocsparse_direction_iiiNS_24const_host_device_scalarIT1_EEPKiS6_PKS3_S4_S6_S6_S8_S6_PiPS3_21rocsparse_index_base_SB_SB_b
		.amdhsa_group_segment_fixed_size 544
		.amdhsa_private_segment_fixed_size 0
		.amdhsa_kernarg_size 120
		.amdhsa_user_sgpr_count 6
		.amdhsa_user_sgpr_private_segment_buffer 1
		.amdhsa_user_sgpr_dispatch_ptr 0
		.amdhsa_user_sgpr_queue_ptr 0
		.amdhsa_user_sgpr_kernarg_segment_ptr 1
		.amdhsa_user_sgpr_dispatch_id 0
		.amdhsa_user_sgpr_flat_scratch_init 0
		.amdhsa_user_sgpr_kernarg_preload_length 0
		.amdhsa_user_sgpr_kernarg_preload_offset 0
		.amdhsa_user_sgpr_private_segment_size 0
		.amdhsa_uses_dynamic_stack 0
		.amdhsa_system_sgpr_private_segment_wavefront_offset 0
		.amdhsa_system_sgpr_workgroup_id_x 1
		.amdhsa_system_sgpr_workgroup_id_y 0
		.amdhsa_system_sgpr_workgroup_id_z 0
		.amdhsa_system_sgpr_workgroup_info 0
		.amdhsa_system_vgpr_workitem_id 0
		.amdhsa_next_free_vgpr 36
		.amdhsa_next_free_sgpr 38
		.amdhsa_accum_offset 36
		.amdhsa_reserve_vcc 1
		.amdhsa_reserve_flat_scratch 0
		.amdhsa_float_round_mode_32 0
		.amdhsa_float_round_mode_16_64 0
		.amdhsa_float_denorm_mode_32 3
		.amdhsa_float_denorm_mode_16_64 3
		.amdhsa_dx10_clamp 1
		.amdhsa_ieee_mode 1
		.amdhsa_fp16_overflow 0
		.amdhsa_tg_split 0
		.amdhsa_exception_fp_ieee_invalid_op 0
		.amdhsa_exception_fp_denorm_src 0
		.amdhsa_exception_fp_ieee_div_zero 0
		.amdhsa_exception_fp_ieee_overflow 0
		.amdhsa_exception_fp_ieee_underflow 0
		.amdhsa_exception_fp_ieee_inexact 0
		.amdhsa_exception_int_div_zero 0
	.end_amdhsa_kernel
	.section	.text._ZN9rocsparseL35bsrgeam_wf_per_row_multipass_kernelILj64ELj4EdEEv20rocsparse_direction_iiiNS_24const_host_device_scalarIT1_EEPKiS6_PKS3_S4_S6_S6_S8_S6_PiPS3_21rocsparse_index_base_SB_SB_b,"axG",@progbits,_ZN9rocsparseL35bsrgeam_wf_per_row_multipass_kernelILj64ELj4EdEEv20rocsparse_direction_iiiNS_24const_host_device_scalarIT1_EEPKiS6_PKS3_S4_S6_S6_S8_S6_PiPS3_21rocsparse_index_base_SB_SB_b,comdat
.Lfunc_end12:
	.size	_ZN9rocsparseL35bsrgeam_wf_per_row_multipass_kernelILj64ELj4EdEEv20rocsparse_direction_iiiNS_24const_host_device_scalarIT1_EEPKiS6_PKS3_S4_S6_S6_S8_S6_PiPS3_21rocsparse_index_base_SB_SB_b, .Lfunc_end12-_ZN9rocsparseL35bsrgeam_wf_per_row_multipass_kernelILj64ELj4EdEEv20rocsparse_direction_iiiNS_24const_host_device_scalarIT1_EEPKiS6_PKS3_S4_S6_S6_S8_S6_PiPS3_21rocsparse_index_base_SB_SB_b
                                        ; -- End function
	.section	.AMDGPU.csdata,"",@progbits
; Kernel info:
; codeLenInByte = 1988
; NumSgprs: 42
; NumVgprs: 36
; NumAgprs: 0
; TotalNumVgprs: 36
; ScratchSize: 0
; MemoryBound: 0
; FloatMode: 240
; IeeeMode: 1
; LDSByteSize: 544 bytes/workgroup (compile time only)
; SGPRBlocks: 5
; VGPRBlocks: 4
; NumSGPRsForWavesPerEU: 42
; NumVGPRsForWavesPerEU: 36
; AccumOffset: 36
; Occupancy: 8
; WaveLimiterHint : 1
; COMPUTE_PGM_RSRC2:SCRATCH_EN: 0
; COMPUTE_PGM_RSRC2:USER_SGPR: 6
; COMPUTE_PGM_RSRC2:TRAP_HANDLER: 0
; COMPUTE_PGM_RSRC2:TGID_X_EN: 1
; COMPUTE_PGM_RSRC2:TGID_Y_EN: 0
; COMPUTE_PGM_RSRC2:TGID_Z_EN: 0
; COMPUTE_PGM_RSRC2:TIDIG_COMP_CNT: 0
; COMPUTE_PGM_RSRC3_GFX90A:ACCUM_OFFSET: 8
; COMPUTE_PGM_RSRC3_GFX90A:TG_SPLIT: 0
	.section	.text._ZN9rocsparseL35bsrgeam_wf_per_row_multipass_kernelILj64ELj8EdEEv20rocsparse_direction_iiiNS_24const_host_device_scalarIT1_EEPKiS6_PKS3_S4_S6_S6_S8_S6_PiPS3_21rocsparse_index_base_SB_SB_b,"axG",@progbits,_ZN9rocsparseL35bsrgeam_wf_per_row_multipass_kernelILj64ELj8EdEEv20rocsparse_direction_iiiNS_24const_host_device_scalarIT1_EEPKiS6_PKS3_S4_S6_S6_S8_S6_PiPS3_21rocsparse_index_base_SB_SB_b,comdat
	.globl	_ZN9rocsparseL35bsrgeam_wf_per_row_multipass_kernelILj64ELj8EdEEv20rocsparse_direction_iiiNS_24const_host_device_scalarIT1_EEPKiS6_PKS3_S4_S6_S6_S8_S6_PiPS3_21rocsparse_index_base_SB_SB_b ; -- Begin function _ZN9rocsparseL35bsrgeam_wf_per_row_multipass_kernelILj64ELj8EdEEv20rocsparse_direction_iiiNS_24const_host_device_scalarIT1_EEPKiS6_PKS3_S4_S6_S6_S8_S6_PiPS3_21rocsparse_index_base_SB_SB_b
	.p2align	8
	.type	_ZN9rocsparseL35bsrgeam_wf_per_row_multipass_kernelILj64ELj8EdEEv20rocsparse_direction_iiiNS_24const_host_device_scalarIT1_EEPKiS6_PKS3_S4_S6_S6_S8_S6_PiPS3_21rocsparse_index_base_SB_SB_b,@function
_ZN9rocsparseL35bsrgeam_wf_per_row_multipass_kernelILj64ELj8EdEEv20rocsparse_direction_iiiNS_24const_host_device_scalarIT1_EEPKiS6_PKS3_S4_S6_S6_S8_S6_PiPS3_21rocsparse_index_base_SB_SB_b: ; @_ZN9rocsparseL35bsrgeam_wf_per_row_multipass_kernelILj64ELj8EdEEv20rocsparse_direction_iiiNS_24const_host_device_scalarIT1_EEPKiS6_PKS3_S4_S6_S6_S8_S6_PiPS3_21rocsparse_index_base_SB_SB_b
; %bb.0:
	s_load_dwordx4 s[8:11], s[4:5], 0x68
	s_load_dwordx2 s[12:13], s[4:5], 0x10
	s_load_dwordx2 s[0:1], s[4:5], 0x30
	s_waitcnt lgkmcnt(0)
	s_bitcmp1_b32 s11, 0
	s_cselect_b64 s[14:15], -1, 0
	s_xor_b64 s[2:3], s[14:15], -1
	s_and_b64 vcc, exec, s[14:15]
	v_pk_mov_b32 v[2:3], s[12:13], s[12:13] op_sel:[0,1]
	s_cbranch_vccnz .LBB13_2
; %bb.1:
	v_pk_mov_b32 v[2:3], s[12:13], s[12:13] op_sel:[0,1]
	flat_load_dwordx2 v[2:3], v[2:3]
.LBB13_2:
	s_load_dwordx2 s[16:17], s[4:5], 0x18
	s_andn2_b64 vcc, exec, s[2:3]
	v_pk_mov_b32 v[4:5], s[0:1], s[0:1] op_sel:[0,1]
	s_cbranch_vccnz .LBB13_4
; %bb.3:
	v_pk_mov_b32 v[4:5], s[0:1], s[0:1] op_sel:[0,1]
	flat_load_dwordx2 v[4:5], v[4:5]
.LBB13_4:
	s_load_dwordx4 s[12:15], s[4:5], 0x0
	v_mov_b32_e32 v12, s6
	v_mov_b32_e32 v1, 0
	;; [unrolled: 1-line block ×3, first 2 shown]
	s_waitcnt lgkmcnt(0)
	s_cmp_ge_i32 s6, s13
	s_cselect_b64 s[0:1], -1, 0
	s_cmp_lt_i32 s6, s13
	s_cselect_b64 s[2:3], -1, 0
	s_and_saveexec_b64 s[18:19], s[2:3]
	s_cbranch_execz .LBB13_6
; %bb.5:
	v_ashrrev_i32_e64 v13, 31, s6
	v_lshlrev_b64 v[6:7], 2, v[12:13]
	v_mov_b32_e32 v8, s17
	v_add_co_u32_e32 v6, vcc, s16, v6
	v_addc_co_u32_e32 v7, vcc, v8, v7, vcc
	global_load_dword v6, v[6:7], off
	s_waitcnt vmcnt(0)
	v_subrev_u32_e32 v6, s8, v6
.LBB13_6:
	s_or_b64 exec, exec, s[18:19]
	s_load_dwordx2 s[18:19], s[4:5], 0x38
	s_and_saveexec_b64 s[20:21], s[2:3]
	s_cbranch_execz .LBB13_8
; %bb.7:
	v_ashrrev_i32_e64 v13, 31, s6
	v_lshlrev_b64 v[8:9], 2, v[12:13]
	v_mov_b32_e32 v1, s17
	v_add_co_u32_e32 v8, vcc, s16, v8
	v_addc_co_u32_e32 v9, vcc, v1, v9, vcc
	global_load_dword v1, v[8:9], off offset:4
	s_waitcnt vmcnt(0)
	v_subrev_u32_e32 v1, s8, v1
.LBB13_8:
	s_or_b64 exec, exec, s[20:21]
	v_mov_b32_e32 v15, 0
	v_mov_b32_e32 v8, 0
	s_and_saveexec_b64 s[16:17], s[2:3]
	s_cbranch_execz .LBB13_10
; %bb.9:
	v_ashrrev_i32_e64 v13, 31, s6
	v_lshlrev_b64 v[8:9], 2, v[12:13]
	s_waitcnt lgkmcnt(0)
	v_mov_b32_e32 v7, s19
	v_add_co_u32_e32 v8, vcc, s18, v8
	v_addc_co_u32_e32 v9, vcc, v7, v9, vcc
	global_load_dword v7, v[8:9], off
	s_waitcnt vmcnt(0)
	v_subrev_u32_e32 v8, s9, v7
.LBB13_10:
	s_or_b64 exec, exec, s[16:17]
	s_and_saveexec_b64 s[16:17], s[2:3]
	s_cbranch_execz .LBB13_12
; %bb.11:
	v_ashrrev_i32_e64 v13, 31, s6
	v_lshlrev_b64 v[10:11], 2, v[12:13]
	s_waitcnt lgkmcnt(0)
	v_mov_b32_e32 v7, s19
	v_add_co_u32_e32 v10, vcc, s18, v10
	v_addc_co_u32_e32 v11, vcc, v7, v11, vcc
	global_load_dword v7, v[10:11], off offset:4
	s_waitcnt vmcnt(0)
	v_subrev_u32_e32 v15, s9, v7
.LBB13_12:
	s_or_b64 exec, exec, s[16:17]
	s_load_dwordx2 s[20:21], s[4:5], 0x20
	v_mov_b32_e32 v10, 0
	s_and_saveexec_b64 s[16:17], s[2:3]
	s_cbranch_execz .LBB13_14
; %bb.13:
	s_load_dwordx2 s[2:3], s[4:5], 0x50
	v_ashrrev_i32_e64 v13, 31, s6
	v_lshlrev_b64 v[10:11], 2, v[12:13]
	s_waitcnt lgkmcnt(0)
	v_mov_b32_e32 v7, s3
	v_add_co_u32_e32 v10, vcc, s2, v10
	v_addc_co_u32_e32 v11, vcc, v7, v11, vcc
	global_load_dword v7, v[10:11], off
	s_waitcnt vmcnt(0)
	v_subrev_u32_e32 v10, s10, v7
.LBB13_14:
	s_or_b64 exec, exec, s[16:17]
	s_load_dwordx2 s[6:7], s[4:5], 0x40
	v_cmp_lt_i32_e32 vcc, v6, v1
	v_mov_b32_e32 v7, s14
	s_and_saveexec_b64 s[2:3], vcc
	s_cbranch_execz .LBB13_16
; %bb.15:
	v_ashrrev_i32_e32 v7, 31, v6
	v_lshlrev_b64 v[12:13], 2, v[6:7]
	s_waitcnt lgkmcnt(0)
	v_mov_b32_e32 v7, s21
	v_add_co_u32_e32 v12, vcc, s20, v12
	v_addc_co_u32_e32 v13, vcc, v7, v13, vcc
	global_load_dword v7, v[12:13], off
	s_waitcnt vmcnt(0)
	v_subrev_u32_e32 v7, s8, v7
.LBB13_16:
	s_or_b64 exec, exec, s[2:3]
	v_cmp_lt_i32_e32 vcc, v8, v15
	v_mov_b32_e32 v9, s14
	s_and_saveexec_b64 s[2:3], vcc
	s_cbranch_execz .LBB13_18
; %bb.17:
	v_ashrrev_i32_e32 v9, 31, v8
	v_lshlrev_b64 v[12:13], 2, v[8:9]
	s_waitcnt lgkmcnt(0)
	v_mov_b32_e32 v9, s7
	v_add_co_u32_e32 v12, vcc, s6, v12
	v_addc_co_u32_e32 v13, vcc, v9, v13, vcc
	global_load_dword v9, v[12:13], off
	s_waitcnt vmcnt(0)
	v_subrev_u32_e32 v9, s9, v9
.LBB13_18:
	s_or_b64 exec, exec, s[2:3]
	v_cndmask_b32_e64 v11, 0, 1, s[0:1]
	v_mov_b32_e32 v12, 0
	ds_write_b32 v12, v11 offset:512
	s_waitcnt lgkmcnt(0)
	; wave barrier
	s_waitcnt lgkmcnt(0)
	ds_read_b32 v11, v12 offset:512
	s_waitcnt lgkmcnt(0)
	v_cmp_ne_u32_e32 vcc, 0, v11
	s_cbranch_vccz .LBB13_20
.LBB13_19:
	s_endpgm
.LBB13_20:
	s_load_dwordx4 s[16:19], s[4:5], 0x58
	s_load_dwordx2 s[22:23], s[4:5], 0x28
	s_load_dwordx2 s[24:25], s[4:5], 0x48
	v_and_b32_e32 v14, 7, v0
	v_lshrrev_b32_e32 v16, 3, v0
	v_min_i32_e32 v7, v9, v7
	v_lshlrev_b32_e32 v26, 3, v0
	v_max_i32_e32 v9, v16, v14
	v_and_b32_e32 v0, 56, v0
	v_cmp_gt_i32_e64 s[0:1], s15, v9
	s_cmp_eq_u32 s12, 0
	v_or_b32_e32 v9, v0, v14
	v_lshlrev_b32_e32 v27, 3, v9
	v_lshl_or_b32 v28, v14, 6, v0
	s_cselect_b64 vcc, -1, 0
	s_cmp_lg_u32 s12, 0
	v_mov_b32_e32 v17, 0x200
	v_mov_b32_e32 v19, 0x204
	s_cselect_b64 s[4:5], -1, 0
	v_cndmask_b32_e32 v29, v27, v28, vcc
	v_cndmask_b32_e32 v0, v16, v14, vcc
	;; [unrolled: 1-line block ×3, first 2 shown]
	s_mul_i32 s11, s15, s15
	v_mov_b32_e32 v13, v12
	v_mov_b32_e32 v30, 1
	s_branch .LBB13_22
.LBB13_21:                              ;   in Loop: Header=BB13_22 Depth=1
	s_or_b64 exec, exec, s[2:3]
	v_cmp_le_i32_e32 vcc, s14, v7
	v_cndmask_b32_e64 v9, 0, 1, vcc
	s_waitcnt lgkmcnt(0)
	; wave barrier
	s_waitcnt lgkmcnt(0)
	s_waitcnt lgkmcnt(0)
	; wave barrier
	ds_write_b32 v17, v9
	s_waitcnt lgkmcnt(0)
	; wave barrier
	s_waitcnt lgkmcnt(0)
	ds_read_b32 v9, v12 offset:512
	v_add_u32_e32 v10, 1, v10
	s_waitcnt lgkmcnt(0)
	v_cmp_eq_u32_e32 vcc, 0, v9
	s_cbranch_vccz .LBB13_19
.LBB13_22:                              ; =>This Loop Header: Depth=1
                                        ;     Child Loop BB13_25 Depth 2
                                        ;     Child Loop BB13_40 Depth 2
	v_mov_b32_e32 v11, v7
	v_cmp_lt_i32_e32 vcc, v6, v1
	v_mov_b32_e32 v7, s14
	ds_write_b32 v19, v12
	ds_write_b64 v26, v[12:13]
	s_waitcnt lgkmcnt(0)
	; wave barrier
	s_waitcnt lgkmcnt(0)
	s_and_saveexec_b64 s[12:13], vcc
	s_cbranch_execz .LBB13_37
; %bb.23:                               ;   in Loop: Header=BB13_22 Depth=1
	v_mul_lo_u32 v7, s15, v6
	v_add_u32_e32 v9, v14, v7
	v_add_u32_e32 v7, v16, v7
	v_mad_u64_u32 v[22:23], s[2:3], s15, v7, v[14:15]
	v_ashrrev_i32_e32 v7, 31, v6
	v_lshlrev_b64 v[24:25], 2, v[6:7]
	v_mov_b32_e32 v7, s21
	v_add_co_u32_e32 v24, vcc, s20, v24
	v_mad_u64_u32 v[20:21], s[2:3], s15, v9, v[16:17]
	v_addc_co_u32_e32 v25, vcc, v7, v25, vcc
	s_mov_b32 s33, 0
	s_mov_b64 s[26:27], 0
	v_mov_b32_e32 v7, s14
	s_branch .LBB13_25
.LBB13_24:                              ;   in Loop: Header=BB13_25 Depth=2
	s_or_b64 exec, exec, s[30:31]
	s_and_b64 s[2:3], exec, s[28:29]
	v_mov_b32_e32 v21, v6
	s_or_b64 s[26:27], s[2:3], s[26:27]
	v_mov_b32_e32 v6, v9
	s_andn2_b64 exec, exec, s[26:27]
	s_cbranch_execz .LBB13_36
.LBB13_25:                              ;   Parent Loop BB13_22 Depth=1
                                        ; =>  This Inner Loop Header: Depth=2
	global_load_dword v9, v[24:25], off
	s_waitcnt vmcnt(0)
	v_subrev_u32_e32 v9, s8, v9
	v_cmp_le_i32_e64 s[2:3], v9, v11
	s_and_saveexec_b64 s[28:29], s[2:3]
	s_xor_b64 s[28:29], exec, s[28:29]
	s_cbranch_execz .LBB13_31
; %bb.26:                               ;   in Loop: Header=BB13_25 Depth=2
	ds_write_b32 v19, v30
	s_and_saveexec_b64 s[30:31], s[0:1]
	s_cbranch_execz .LBB13_30
; %bb.27:                               ;   in Loop: Header=BB13_25 Depth=2
	s_and_b64 vcc, exec, s[4:5]
	s_cbranch_vccz .LBB13_35
; %bb.28:                               ;   in Loop: Header=BB13_25 Depth=2
	v_add_u32_e32 v32, s33, v22
	v_ashrrev_i32_e32 v33, 31, v32
	v_lshlrev_b64 v[32:33], 3, v[32:33]
	v_mov_b32_e32 v9, s23
	v_add_co_u32_e32 v32, vcc, s22, v32
	v_addc_co_u32_e32 v33, vcc, v9, v33, vcc
	global_load_dwordx2 v[32:33], v[32:33], off
	s_waitcnt vmcnt(0)
	v_mul_f64 v[32:33], v[2:3], v[32:33]
	ds_write_b64 v27, v[32:33]
	s_cbranch_execnz .LBB13_30
.LBB13_29:                              ;   in Loop: Header=BB13_25 Depth=2
	v_add_u32_e32 v32, s33, v20
	v_ashrrev_i32_e32 v33, 31, v32
	v_lshlrev_b64 v[32:33], 3, v[32:33]
	v_mov_b32_e32 v9, s23
	v_add_co_u32_e32 v32, vcc, s22, v32
	v_addc_co_u32_e32 v33, vcc, v9, v33, vcc
	global_load_dwordx2 v[32:33], v[32:33], off
	s_waitcnt vmcnt(0)
	v_mul_f64 v[32:33], v[2:3], v[32:33]
	ds_write_b64 v28, v[32:33]
.LBB13_30:                              ;   in Loop: Header=BB13_25 Depth=2
	s_or_b64 exec, exec, s[30:31]
                                        ; implicit-def: $vgpr9
	s_andn2_saveexec_b64 s[28:29], s[28:29]
	s_branch .LBB13_32
.LBB13_31:                              ;   in Loop: Header=BB13_25 Depth=2
	s_andn2_saveexec_b64 s[28:29], s[28:29]
.LBB13_32:                              ;   in Loop: Header=BB13_25 Depth=2
	v_min_i32_e32 v7, v9, v7
; %bb.33:                               ;   in Loop: Header=BB13_25 Depth=2
	s_or_b64 exec, exec, s[28:29]
	s_mov_b64 s[28:29], -1
                                        ; implicit-def: $vgpr9
	s_and_saveexec_b64 s[30:31], s[2:3]
	s_cbranch_execz .LBB13_24
; %bb.34:                               ;   in Loop: Header=BB13_25 Depth=2
	v_add_co_u32_e32 v24, vcc, 4, v24
	v_add_u32_e32 v9, 1, v6
	v_addc_co_u32_e32 v25, vcc, 0, v25, vcc
	v_cmp_ge_i32_e32 vcc, v9, v1
	s_add_i32 s33, s33, s11
	s_orn2_b64 s[28:29], vcc, exec
	v_mov_b32_e32 v6, v1
	s_branch .LBB13_24
.LBB13_35:                              ;   in Loop: Header=BB13_25 Depth=2
	s_branch .LBB13_29
.LBB13_36:                              ;   in Loop: Header=BB13_22 Depth=1
	s_or_b64 exec, exec, s[26:27]
	v_mov_b32_e32 v6, v21
.LBB13_37:                              ;   in Loop: Header=BB13_22 Depth=1
	s_or_b64 exec, exec, s[12:13]
	v_cmp_lt_i32_e32 vcc, v8, v15
	s_waitcnt lgkmcnt(0)
	; wave barrier
	s_waitcnt lgkmcnt(0)
	s_and_saveexec_b64 s[12:13], vcc
	s_cbranch_execz .LBB13_52
; %bb.38:                               ;   in Loop: Header=BB13_22 Depth=1
	v_mul_lo_u32 v9, s15, v8
	v_add_u32_e32 v20, v14, v9
	v_add_u32_e32 v9, v16, v9
	v_mad_u64_u32 v[22:23], s[2:3], s15, v9, v[14:15]
	v_ashrrev_i32_e32 v9, 31, v8
	v_lshlrev_b64 v[24:25], 2, v[8:9]
	v_mov_b32_e32 v9, s7
	v_add_co_u32_e32 v24, vcc, s6, v24
	v_mad_u64_u32 v[20:21], s[2:3], s15, v20, v[16:17]
	v_addc_co_u32_e32 v25, vcc, v9, v25, vcc
	s_mov_b32 s33, 0
	s_mov_b64 s[26:27], 0
	s_branch .LBB13_40
.LBB13_39:                              ;   in Loop: Header=BB13_40 Depth=2
	s_or_b64 exec, exec, s[30:31]
	s_and_b64 s[2:3], exec, s[28:29]
	v_mov_b32_e32 v21, v8
	s_or_b64 s[26:27], s[2:3], s[26:27]
	v_mov_b32_e32 v8, v9
	s_andn2_b64 exec, exec, s[26:27]
	s_cbranch_execz .LBB13_51
.LBB13_40:                              ;   Parent Loop BB13_22 Depth=1
                                        ; =>  This Inner Loop Header: Depth=2
	global_load_dword v9, v[24:25], off
	s_waitcnt vmcnt(0)
	v_subrev_u32_e32 v9, s9, v9
	v_cmp_le_i32_e64 s[2:3], v9, v11
	s_and_saveexec_b64 s[28:29], s[2:3]
	s_xor_b64 s[28:29], exec, s[28:29]
	s_cbranch_execz .LBB13_46
; %bb.41:                               ;   in Loop: Header=BB13_40 Depth=2
	ds_write_b32 v19, v30
	s_and_saveexec_b64 s[30:31], s[0:1]
	s_cbranch_execz .LBB13_45
; %bb.42:                               ;   in Loop: Header=BB13_40 Depth=2
	s_and_b64 vcc, exec, s[4:5]
	s_cbranch_vccz .LBB13_50
; %bb.43:                               ;   in Loop: Header=BB13_40 Depth=2
	v_add_u32_e32 v32, s33, v22
	v_ashrrev_i32_e32 v33, 31, v32
	v_lshlrev_b64 v[32:33], 3, v[32:33]
	v_mov_b32_e32 v9, s25
	v_add_co_u32_e32 v32, vcc, s24, v32
	v_addc_co_u32_e32 v33, vcc, v9, v33, vcc
	global_load_dwordx2 v[32:33], v[32:33], off
	ds_read_b64 v[34:35], v27
	s_waitcnt vmcnt(0) lgkmcnt(0)
	v_fmac_f64_e32 v[34:35], v[4:5], v[32:33]
	ds_write_b64 v27, v[34:35]
	s_cbranch_execnz .LBB13_45
.LBB13_44:                              ;   in Loop: Header=BB13_40 Depth=2
	v_add_u32_e32 v32, s33, v20
	v_ashrrev_i32_e32 v33, 31, v32
	v_lshlrev_b64 v[32:33], 3, v[32:33]
	v_mov_b32_e32 v9, s25
	v_add_co_u32_e32 v32, vcc, s24, v32
	v_addc_co_u32_e32 v33, vcc, v9, v33, vcc
	global_load_dwordx2 v[32:33], v[32:33], off
	ds_read_b64 v[34:35], v28
	s_waitcnt vmcnt(0) lgkmcnt(0)
	v_fmac_f64_e32 v[34:35], v[4:5], v[32:33]
	ds_write_b64 v28, v[34:35]
.LBB13_45:                              ;   in Loop: Header=BB13_40 Depth=2
	s_or_b64 exec, exec, s[30:31]
                                        ; implicit-def: $vgpr9
	s_andn2_saveexec_b64 s[28:29], s[28:29]
	s_branch .LBB13_47
.LBB13_46:                              ;   in Loop: Header=BB13_40 Depth=2
	s_andn2_saveexec_b64 s[28:29], s[28:29]
.LBB13_47:                              ;   in Loop: Header=BB13_40 Depth=2
	v_min_i32_e32 v7, v9, v7
; %bb.48:                               ;   in Loop: Header=BB13_40 Depth=2
	s_or_b64 exec, exec, s[28:29]
	s_mov_b64 s[28:29], -1
                                        ; implicit-def: $vgpr9
	s_and_saveexec_b64 s[30:31], s[2:3]
	s_cbranch_execz .LBB13_39
; %bb.49:                               ;   in Loop: Header=BB13_40 Depth=2
	v_add_co_u32_e32 v24, vcc, 4, v24
	v_add_u32_e32 v9, 1, v8
	v_addc_co_u32_e32 v25, vcc, 0, v25, vcc
	v_cmp_ge_i32_e32 vcc, v9, v15
	s_add_i32 s33, s33, s11
	s_orn2_b64 s[28:29], vcc, exec
	v_mov_b32_e32 v8, v15
	s_branch .LBB13_39
.LBB13_50:                              ;   in Loop: Header=BB13_40 Depth=2
	s_branch .LBB13_44
.LBB13_51:                              ;   in Loop: Header=BB13_22 Depth=1
	s_or_b64 exec, exec, s[26:27]
	v_mov_b32_e32 v8, v21
.LBB13_52:                              ;   in Loop: Header=BB13_22 Depth=1
	s_or_b64 exec, exec, s[12:13]
	s_waitcnt lgkmcnt(0)
	; wave barrier
	s_waitcnt lgkmcnt(0)
	ds_read_b32 v9, v19
	s_waitcnt lgkmcnt(0)
	v_cmp_ne_u32_e32 vcc, 0, v9
	s_and_saveexec_b64 s[2:3], vcc
	s_cbranch_execz .LBB13_21
; %bb.53:                               ;   in Loop: Header=BB13_22 Depth=1
	v_add_u32_e32 v9, s10, v11
	v_ashrrev_i32_e32 v11, 31, v10
	v_lshlrev_b64 v[20:21], 2, v[10:11]
	v_mov_b32_e32 v11, s17
	v_add_co_u32_e32 v20, vcc, s16, v20
	v_addc_co_u32_e32 v21, vcc, v11, v21, vcc
	global_store_dword v[20:21], v9, off
	s_and_b64 exec, exec, s[0:1]
	s_cbranch_execz .LBB13_21
; %bb.54:                               ;   in Loop: Header=BB13_22 Depth=1
	v_mad_u64_u32 v[22:23], s[12:13], v10, s15, v[0:1]
	ds_read_b64 v[20:21], v29
	v_mad_u64_u32 v[22:23], s[12:13], v22, s15, v[18:19]
	v_ashrrev_i32_e32 v23, 31, v22
	v_lshlrev_b64 v[22:23], 3, v[22:23]
	v_mov_b32_e32 v9, s19
	v_add_co_u32_e32 v22, vcc, s18, v22
	v_addc_co_u32_e32 v23, vcc, v9, v23, vcc
	s_waitcnt lgkmcnt(0)
	global_store_dwordx2 v[22:23], v[20:21], off
	s_branch .LBB13_21
	.section	.rodata,"a",@progbits
	.p2align	6, 0x0
	.amdhsa_kernel _ZN9rocsparseL35bsrgeam_wf_per_row_multipass_kernelILj64ELj8EdEEv20rocsparse_direction_iiiNS_24const_host_device_scalarIT1_EEPKiS6_PKS3_S4_S6_S6_S8_S6_PiPS3_21rocsparse_index_base_SB_SB_b
		.amdhsa_group_segment_fixed_size 520
		.amdhsa_private_segment_fixed_size 0
		.amdhsa_kernarg_size 120
		.amdhsa_user_sgpr_count 6
		.amdhsa_user_sgpr_private_segment_buffer 1
		.amdhsa_user_sgpr_dispatch_ptr 0
		.amdhsa_user_sgpr_queue_ptr 0
		.amdhsa_user_sgpr_kernarg_segment_ptr 1
		.amdhsa_user_sgpr_dispatch_id 0
		.amdhsa_user_sgpr_flat_scratch_init 0
		.amdhsa_user_sgpr_kernarg_preload_length 0
		.amdhsa_user_sgpr_kernarg_preload_offset 0
		.amdhsa_user_sgpr_private_segment_size 0
		.amdhsa_uses_dynamic_stack 0
		.amdhsa_system_sgpr_private_segment_wavefront_offset 0
		.amdhsa_system_sgpr_workgroup_id_x 1
		.amdhsa_system_sgpr_workgroup_id_y 0
		.amdhsa_system_sgpr_workgroup_id_z 0
		.amdhsa_system_sgpr_workgroup_info 0
		.amdhsa_system_vgpr_workitem_id 0
		.amdhsa_next_free_vgpr 36
		.amdhsa_next_free_sgpr 34
		.amdhsa_accum_offset 36
		.amdhsa_reserve_vcc 1
		.amdhsa_reserve_flat_scratch 0
		.amdhsa_float_round_mode_32 0
		.amdhsa_float_round_mode_16_64 0
		.amdhsa_float_denorm_mode_32 3
		.amdhsa_float_denorm_mode_16_64 3
		.amdhsa_dx10_clamp 1
		.amdhsa_ieee_mode 1
		.amdhsa_fp16_overflow 0
		.amdhsa_tg_split 0
		.amdhsa_exception_fp_ieee_invalid_op 0
		.amdhsa_exception_fp_denorm_src 0
		.amdhsa_exception_fp_ieee_div_zero 0
		.amdhsa_exception_fp_ieee_overflow 0
		.amdhsa_exception_fp_ieee_underflow 0
		.amdhsa_exception_fp_ieee_inexact 0
		.amdhsa_exception_int_div_zero 0
	.end_amdhsa_kernel
	.section	.text._ZN9rocsparseL35bsrgeam_wf_per_row_multipass_kernelILj64ELj8EdEEv20rocsparse_direction_iiiNS_24const_host_device_scalarIT1_EEPKiS6_PKS3_S4_S6_S6_S8_S6_PiPS3_21rocsparse_index_base_SB_SB_b,"axG",@progbits,_ZN9rocsparseL35bsrgeam_wf_per_row_multipass_kernelILj64ELj8EdEEv20rocsparse_direction_iiiNS_24const_host_device_scalarIT1_EEPKiS6_PKS3_S4_S6_S6_S8_S6_PiPS3_21rocsparse_index_base_SB_SB_b,comdat
.Lfunc_end13:
	.size	_ZN9rocsparseL35bsrgeam_wf_per_row_multipass_kernelILj64ELj8EdEEv20rocsparse_direction_iiiNS_24const_host_device_scalarIT1_EEPKiS6_PKS3_S4_S6_S6_S8_S6_PiPS3_21rocsparse_index_base_SB_SB_b, .Lfunc_end13-_ZN9rocsparseL35bsrgeam_wf_per_row_multipass_kernelILj64ELj8EdEEv20rocsparse_direction_iiiNS_24const_host_device_scalarIT1_EEPKiS6_PKS3_S4_S6_S6_S8_S6_PiPS3_21rocsparse_index_base_SB_SB_b
                                        ; -- End function
	.section	.AMDGPU.csdata,"",@progbits
; Kernel info:
; codeLenInByte = 1796
; NumSgprs: 38
; NumVgprs: 36
; NumAgprs: 0
; TotalNumVgprs: 36
; ScratchSize: 0
; MemoryBound: 0
; FloatMode: 240
; IeeeMode: 1
; LDSByteSize: 520 bytes/workgroup (compile time only)
; SGPRBlocks: 4
; VGPRBlocks: 4
; NumSGPRsForWavesPerEU: 38
; NumVGPRsForWavesPerEU: 36
; AccumOffset: 36
; Occupancy: 8
; WaveLimiterHint : 1
; COMPUTE_PGM_RSRC2:SCRATCH_EN: 0
; COMPUTE_PGM_RSRC2:USER_SGPR: 6
; COMPUTE_PGM_RSRC2:TRAP_HANDLER: 0
; COMPUTE_PGM_RSRC2:TGID_X_EN: 1
; COMPUTE_PGM_RSRC2:TGID_Y_EN: 0
; COMPUTE_PGM_RSRC2:TGID_Z_EN: 0
; COMPUTE_PGM_RSRC2:TIDIG_COMP_CNT: 0
; COMPUTE_PGM_RSRC3_GFX90A:ACCUM_OFFSET: 8
; COMPUTE_PGM_RSRC3_GFX90A:TG_SPLIT: 0
	.section	.text._ZN9rocsparseL39bsrgeam_block_per_row_multipass_kernel2ILj256ELj16EdEEv20rocsparse_direction_iiiNS_24const_host_device_scalarIT1_EEPKiS6_PKS3_S4_S6_S6_S8_S6_PiPS3_21rocsparse_index_base_SB_SB_b,"axG",@progbits,_ZN9rocsparseL39bsrgeam_block_per_row_multipass_kernel2ILj256ELj16EdEEv20rocsparse_direction_iiiNS_24const_host_device_scalarIT1_EEPKiS6_PKS3_S4_S6_S6_S8_S6_PiPS3_21rocsparse_index_base_SB_SB_b,comdat
	.globl	_ZN9rocsparseL39bsrgeam_block_per_row_multipass_kernel2ILj256ELj16EdEEv20rocsparse_direction_iiiNS_24const_host_device_scalarIT1_EEPKiS6_PKS3_S4_S6_S6_S8_S6_PiPS3_21rocsparse_index_base_SB_SB_b ; -- Begin function _ZN9rocsparseL39bsrgeam_block_per_row_multipass_kernel2ILj256ELj16EdEEv20rocsparse_direction_iiiNS_24const_host_device_scalarIT1_EEPKiS6_PKS3_S4_S6_S6_S8_S6_PiPS3_21rocsparse_index_base_SB_SB_b
	.p2align	8
	.type	_ZN9rocsparseL39bsrgeam_block_per_row_multipass_kernel2ILj256ELj16EdEEv20rocsparse_direction_iiiNS_24const_host_device_scalarIT1_EEPKiS6_PKS3_S4_S6_S6_S8_S6_PiPS3_21rocsparse_index_base_SB_SB_b,@function
_ZN9rocsparseL39bsrgeam_block_per_row_multipass_kernel2ILj256ELj16EdEEv20rocsparse_direction_iiiNS_24const_host_device_scalarIT1_EEPKiS6_PKS3_S4_S6_S6_S8_S6_PiPS3_21rocsparse_index_base_SB_SB_b: ; @_ZN9rocsparseL39bsrgeam_block_per_row_multipass_kernel2ILj256ELj16EdEEv20rocsparse_direction_iiiNS_24const_host_device_scalarIT1_EEPKiS6_PKS3_S4_S6_S6_S8_S6_PiPS3_21rocsparse_index_base_SB_SB_b
; %bb.0:
	s_load_dwordx4 s[8:11], s[4:5], 0x68
	s_load_dwordx2 s[20:21], s[4:5], 0x50
	s_load_dwordx4 s[12:15], s[4:5], 0x10
	s_load_dwordx4 s[0:3], s[4:5], 0x30
	s_waitcnt lgkmcnt(0)
	s_bitcmp1_b32 s11, 0
	s_cselect_b64 s[16:17], -1, 0
	s_xor_b64 s[18:19], s[16:17], -1
	s_and_b64 vcc, exec, s[16:17]
	v_pk_mov_b32 v[2:3], s[12:13], s[12:13] op_sel:[0,1]
	s_cbranch_vccnz .LBB14_2
; %bb.1:
	v_pk_mov_b32 v[2:3], s[12:13], s[12:13] op_sel:[0,1]
	flat_load_dwordx2 v[2:3], v[2:3]
.LBB14_2:
	s_load_dwordx2 s[16:17], s[4:5], 0x20
	s_andn2_b64 vcc, exec, s[18:19]
	v_pk_mov_b32 v[4:5], s[0:1], s[0:1] op_sel:[0,1]
	s_cbranch_vccnz .LBB14_4
; %bb.3:
	v_pk_mov_b32 v[4:5], s[0:1], s[0:1] op_sel:[0,1]
	flat_load_dwordx2 v[4:5], v[4:5]
.LBB14_4:
	s_ashr_i32 s7, s6, 31
	s_lshl_b64 s[12:13], s[6:7], 2
	s_add_u32 s14, s14, s12
	s_addc_u32 s15, s15, s13
	s_load_dwordx2 s[0:1], s[14:15], 0x0
	s_load_dwordx2 s[6:7], s[4:5], 0x40
	;; [unrolled: 1-line block ×3, first 2 shown]
	s_waitcnt lgkmcnt(0)
	s_sub_i32 s28, s0, s8
	s_add_u32 s2, s2, s12
	s_addc_u32 s3, s3, s13
	s_load_dwordx2 s[22:23], s[2:3], 0x0
	s_add_u32 s24, s20, s12
	s_addc_u32 s25, s21, s13
	s_cmp_ge_i32 s0, s1
	s_mov_b32 s0, s18
	s_cbranch_scc1 .LBB14_6
; %bb.5:
	s_ashr_i32 s29, s28, 31
	s_lshl_b64 s[2:3], s[28:29], 2
	s_add_u32 s2, s16, s2
	s_addc_u32 s3, s17, s3
	s_load_dword s0, s[2:3], 0x0
	s_waitcnt lgkmcnt(0)
	s_sub_i32 s0, s0, s8
.LBB14_6:
	s_load_dwordx4 s[12:15], s[4:5], 0x58
	s_load_dwordx2 s[2:3], s[4:5], 0x28
	s_load_dwordx2 s[20:21], s[4:5], 0x48
	s_load_dword s26, s[24:25], 0x0
	s_waitcnt lgkmcnt(0)
	s_sub_i32 s30, s22, s9
	s_cmp_ge_i32 s22, s23
	s_mov_b32 s24, s18
	s_cbranch_scc1 .LBB14_8
; %bb.7:
	s_ashr_i32 s31, s30, 31
	s_lshl_b64 s[24:25], s[30:31], 2
	s_add_u32 s24, s6, s24
	s_addc_u32 s25, s7, s25
	s_load_dword s11, s[24:25], 0x0
	s_waitcnt lgkmcnt(0)
	s_sub_i32 s24, s11, s9
.LBB14_8:
	s_sub_i32 s33, s23, s9
	s_load_dword s23, s[4:5], 0x0
	v_and_b32_e32 v6, 15, v0
	v_lshrrev_b32_e32 v8, 4, v0
	s_sub_i32 s11, s1, s8
	s_min_i32 s29, s24, s0
	v_cmp_gt_u32_e32 vcc, s19, v6
	v_cmp_gt_i32_e64 s[0:1], s19, v8
	s_sub_i32 s22, s26, s10
	s_and_b64 s[4:5], vcc, s[0:1]
	v_lshlrev_b32_e32 v1, 3, v0
	s_waitcnt lgkmcnt(0)
	s_cmp_eq_u32 s23, 0
	v_lshlrev_b32_e32 v0, 3, v8
	v_lshl_or_b32 v7, v6, 7, v0
	s_cselect_b64 vcc, -1, 0
	s_cmp_lg_u32 s23, 0
	v_mov_b32_e32 v15, 0
	s_cselect_b64 s[24:25], -1, 0
	v_cndmask_b32_e32 v9, v7, v1, vcc
	v_cndmask_b32_e32 v24, v6, v8, vcc
	;; [unrolled: 1-line block ×3, first 2 shown]
	s_mul_i32 s40, s19, s19
	s_mov_b64 s[26:27], 0
	v_mov_b32_e32 v26, s29
	v_mov_b32_e32 v10, s30
	;; [unrolled: 1-line block ×6, first 2 shown]
	s_branch .LBB14_11
.LBB14_9:                               ;   in Loop: Header=BB14_11 Depth=1
	s_or_b64 exec, exec, s[0:1]
.LBB14_10:                              ;   in Loop: Header=BB14_11 Depth=1
	s_barrier
	ds_read_b32 v11, v15 offset:2048
	v_cmp_le_i32_e32 vcc, s18, v13
	v_mov_b32_e32 v26, v13
	s_waitcnt lgkmcnt(0)
	s_barrier
	v_readfirstlane_b32 s0, v11
	s_add_i32 s22, s0, s22
	s_or_b64 s[26:27], vcc, s[26:27]
	s_andn2_b64 exec, exec, s[26:27]
	s_cbranch_execz .LBB14_44
.LBB14_11:                              ; =>This Loop Header: Depth=1
                                        ;     Child Loop BB14_14 Depth 2
                                        ;     Child Loop BB14_29 Depth 2
	v_cmp_gt_i32_e32 vcc, s11, v12
	v_mov_b32_e32 v13, s18
	ds_write_b32 v15, v15 offset:2048
	ds_write_b64 v1, v[16:17]
	s_waitcnt lgkmcnt(0)
	s_barrier
	s_and_saveexec_b64 s[28:29], vcc
	s_cbranch_execz .LBB14_26
; %bb.12:                               ;   in Loop: Header=BB14_11 Depth=1
	v_mul_lo_u32 v11, s19, v12
	v_add_u32_e32 v13, v8, v11
	v_mad_u64_u32 v[18:19], s[0:1], s19, v13, v[6:7]
	v_ashrrev_i32_e32 v13, 31, v12
	v_add_u32_e32 v11, v6, v11
	v_lshlrev_b64 v[22:23], 2, v[12:13]
	v_mad_u64_u32 v[20:21], s[0:1], s19, v11, v[8:9]
	v_mov_b32_e32 v11, s17
	v_add_co_u32_e32 v22, vcc, s16, v22
	v_addc_co_u32_e32 v23, vcc, v11, v23, vcc
	s_mov_b32 s23, 0
	s_mov_b64 s[30:31], 0
	v_mov_b32_e32 v13, s18
	s_branch .LBB14_14
.LBB14_13:                              ;   in Loop: Header=BB14_14 Depth=2
	s_or_b64 exec, exec, s[36:37]
	s_and_b64 s[0:1], exec, s[34:35]
	s_or_b64 s[30:31], s[0:1], s[30:31]
	s_andn2_b64 exec, exec, s[30:31]
	s_cbranch_execz .LBB14_25
.LBB14_14:                              ;   Parent Loop BB14_11 Depth=1
                                        ; =>  This Inner Loop Header: Depth=2
	global_load_dword v11, v[22:23], off
	s_waitcnt vmcnt(0)
	v_subrev_u32_e32 v11, s8, v11
	v_cmp_eq_u32_e64 s[0:1], v11, v26
	v_cmp_ne_u32_e32 vcc, v11, v26
	s_and_saveexec_b64 s[34:35], vcc
	s_xor_b64 s[34:35], exec, s[34:35]
	s_cbranch_execnz .LBB14_17
; %bb.15:                               ;   in Loop: Header=BB14_14 Depth=2
	s_andn2_saveexec_b64 s[34:35], s[34:35]
	s_cbranch_execnz .LBB14_18
.LBB14_16:                              ;   in Loop: Header=BB14_14 Depth=2
	s_or_b64 exec, exec, s[34:35]
	s_mov_b64 s[34:35], -1
	s_and_saveexec_b64 s[36:37], s[0:1]
	s_cbranch_execz .LBB14_13
	s_branch .LBB14_24
.LBB14_17:                              ;   in Loop: Header=BB14_14 Depth=2
	v_min_i32_e32 v13, v11, v13
	s_andn2_saveexec_b64 s[34:35], s[34:35]
	s_cbranch_execz .LBB14_16
.LBB14_18:                              ;   in Loop: Header=BB14_14 Depth=2
	ds_write_b32 v15, v25 offset:2048
	s_and_saveexec_b64 s[36:37], s[4:5]
	s_cbranch_execz .LBB14_23
; %bb.19:                               ;   in Loop: Header=BB14_14 Depth=2
	s_and_b64 vcc, exec, s[24:25]
	s_cbranch_vccz .LBB14_21
; %bb.20:                               ;   in Loop: Header=BB14_14 Depth=2
	v_add_u32_e32 v14, s23, v20
	v_lshlrev_b64 v[28:29], 3, v[14:15]
	v_mov_b32_e32 v11, s3
	v_add_co_u32_e32 v28, vcc, s2, v28
	v_addc_co_u32_e32 v29, vcc, v11, v29, vcc
	global_load_dwordx2 v[28:29], v[28:29], off
	s_waitcnt vmcnt(0)
	v_mul_f64 v[28:29], v[2:3], v[28:29]
	ds_write_b64 v7, v[28:29]
	s_cbranch_execz .LBB14_22
	s_branch .LBB14_23
.LBB14_21:                              ;   in Loop: Header=BB14_14 Depth=2
.LBB14_22:                              ;   in Loop: Header=BB14_14 Depth=2
	v_add_u32_e32 v14, s23, v18
	v_lshlrev_b64 v[28:29], 3, v[14:15]
	v_mov_b32_e32 v11, s3
	v_add_co_u32_e32 v28, vcc, s2, v28
	v_addc_co_u32_e32 v29, vcc, v11, v29, vcc
	global_load_dwordx2 v[28:29], v[28:29], off
	s_waitcnt vmcnt(0)
	v_mul_f64 v[28:29], v[2:3], v[28:29]
	ds_write_b64 v1, v[28:29]
.LBB14_23:                              ;   in Loop: Header=BB14_14 Depth=2
	s_or_b64 exec, exec, s[36:37]
	s_or_b64 exec, exec, s[34:35]
	s_mov_b64 s[34:35], -1
	s_and_saveexec_b64 s[36:37], s[0:1]
	s_cbranch_execz .LBB14_13
.LBB14_24:                              ;   in Loop: Header=BB14_14 Depth=2
	v_add_co_u32_e32 v22, vcc, 4, v22
	v_add_u32_e32 v12, 1, v12
	v_addc_co_u32_e32 v23, vcc, 0, v23, vcc
	v_cmp_le_i32_e32 vcc, s11, v12
	s_add_i32 s23, s23, s40
	s_orn2_b64 s[34:35], vcc, exec
	s_branch .LBB14_13
.LBB14_25:                              ;   in Loop: Header=BB14_11 Depth=1
	s_or_b64 exec, exec, s[30:31]
.LBB14_26:                              ;   in Loop: Header=BB14_11 Depth=1
	s_or_b64 exec, exec, s[28:29]
	v_cmp_gt_i32_e32 vcc, s33, v10
	s_waitcnt lgkmcnt(0)
	s_barrier
	s_and_saveexec_b64 s[28:29], vcc
	s_cbranch_execz .LBB14_41
; %bb.27:                               ;   in Loop: Header=BB14_11 Depth=1
	v_mul_lo_u32 v11, s19, v10
	v_add_u32_e32 v14, v8, v11
	v_add_u32_e32 v11, v6, v11
	v_mad_u64_u32 v[20:21], s[0:1], s19, v11, v[8:9]
	v_ashrrev_i32_e32 v11, 31, v10
	v_lshlrev_b64 v[22:23], 2, v[10:11]
	v_mov_b32_e32 v11, s7
	v_add_co_u32_e32 v22, vcc, s6, v22
	v_mad_u64_u32 v[18:19], s[0:1], s19, v14, v[6:7]
	v_addc_co_u32_e32 v23, vcc, v11, v23, vcc
	s_mov_b32 s23, 0
	s_mov_b64 s[30:31], 0
	s_branch .LBB14_29
.LBB14_28:                              ;   in Loop: Header=BB14_29 Depth=2
	s_or_b64 exec, exec, s[36:37]
	s_and_b64 s[0:1], exec, s[34:35]
	s_or_b64 s[30:31], s[0:1], s[30:31]
	s_andn2_b64 exec, exec, s[30:31]
	s_cbranch_execz .LBB14_40
.LBB14_29:                              ;   Parent Loop BB14_11 Depth=1
                                        ; =>  This Inner Loop Header: Depth=2
	global_load_dword v11, v[22:23], off
	s_waitcnt vmcnt(0)
	v_subrev_u32_e32 v11, s9, v11
	v_cmp_eq_u32_e64 s[0:1], v11, v26
	v_cmp_ne_u32_e32 vcc, v11, v26
	s_and_saveexec_b64 s[34:35], vcc
	s_xor_b64 s[34:35], exec, s[34:35]
	s_cbranch_execnz .LBB14_32
; %bb.30:                               ;   in Loop: Header=BB14_29 Depth=2
	s_andn2_saveexec_b64 s[34:35], s[34:35]
	s_cbranch_execnz .LBB14_33
.LBB14_31:                              ;   in Loop: Header=BB14_29 Depth=2
	s_or_b64 exec, exec, s[34:35]
	s_mov_b64 s[34:35], -1
	s_and_saveexec_b64 s[36:37], s[0:1]
	s_cbranch_execz .LBB14_28
	s_branch .LBB14_39
.LBB14_32:                              ;   in Loop: Header=BB14_29 Depth=2
	v_min_i32_e32 v13, v11, v13
	s_andn2_saveexec_b64 s[34:35], s[34:35]
	s_cbranch_execz .LBB14_31
.LBB14_33:                              ;   in Loop: Header=BB14_29 Depth=2
	ds_write_b32 v15, v25 offset:2048
	s_and_saveexec_b64 s[36:37], s[4:5]
	s_cbranch_execz .LBB14_38
; %bb.34:                               ;   in Loop: Header=BB14_29 Depth=2
	s_and_b64 vcc, exec, s[24:25]
	s_cbranch_vccz .LBB14_36
; %bb.35:                               ;   in Loop: Header=BB14_29 Depth=2
	v_add_u32_e32 v14, s23, v20
	v_lshlrev_b64 v[28:29], 3, v[14:15]
	v_mov_b32_e32 v11, s21
	v_add_co_u32_e32 v28, vcc, s20, v28
	v_addc_co_u32_e32 v29, vcc, v11, v29, vcc
	global_load_dwordx2 v[28:29], v[28:29], off
	ds_read_b64 v[30:31], v7
	s_waitcnt vmcnt(0) lgkmcnt(0)
	v_fmac_f64_e32 v[30:31], v[4:5], v[28:29]
	ds_write_b64 v7, v[30:31]
	s_cbranch_execz .LBB14_37
	s_branch .LBB14_38
.LBB14_36:                              ;   in Loop: Header=BB14_29 Depth=2
.LBB14_37:                              ;   in Loop: Header=BB14_29 Depth=2
	v_add_u32_e32 v14, s23, v18
	v_lshlrev_b64 v[28:29], 3, v[14:15]
	v_mov_b32_e32 v11, s21
	v_add_co_u32_e32 v28, vcc, s20, v28
	v_addc_co_u32_e32 v29, vcc, v11, v29, vcc
	global_load_dwordx2 v[28:29], v[28:29], off
	ds_read_b64 v[30:31], v1
	s_waitcnt vmcnt(0) lgkmcnt(0)
	v_fmac_f64_e32 v[30:31], v[4:5], v[28:29]
	ds_write_b64 v1, v[30:31]
.LBB14_38:                              ;   in Loop: Header=BB14_29 Depth=2
	s_or_b64 exec, exec, s[36:37]
	s_or_b64 exec, exec, s[34:35]
	s_mov_b64 s[34:35], -1
	s_and_saveexec_b64 s[36:37], s[0:1]
	s_cbranch_execz .LBB14_28
.LBB14_39:                              ;   in Loop: Header=BB14_29 Depth=2
	v_add_co_u32_e32 v22, vcc, 4, v22
	v_add_u32_e32 v10, 1, v10
	v_addc_co_u32_e32 v23, vcc, 0, v23, vcc
	v_cmp_le_i32_e32 vcc, s33, v10
	s_add_i32 s23, s23, s40
	s_orn2_b64 s[34:35], vcc, exec
	s_branch .LBB14_28
.LBB14_40:                              ;   in Loop: Header=BB14_11 Depth=1
	s_or_b64 exec, exec, s[30:31]
.LBB14_41:                              ;   in Loop: Header=BB14_11 Depth=1
	s_or_b64 exec, exec, s[28:29]
	s_waitcnt lgkmcnt(0)
	s_barrier
	ds_read_b32 v11, v15 offset:2048
	s_waitcnt lgkmcnt(0)
	v_cmp_eq_u32_e32 vcc, 0, v11
	s_cbranch_vccnz .LBB14_10
; %bb.42:                               ;   in Loop: Header=BB14_11 Depth=1
	s_ashr_i32 s23, s22, 31
	s_lshl_b64 s[0:1], s[22:23], 2
	s_add_u32 s0, s12, s0
	v_add_u32_e32 v11, s10, v26
	s_addc_u32 s1, s13, s1
	global_store_dword v15, v11, s[0:1]
	s_and_saveexec_b64 s[0:1], s[4:5]
	s_cbranch_execz .LBB14_9
; %bb.43:                               ;   in Loop: Header=BB14_11 Depth=1
	s_mul_i32 s23, s22, s19
	v_add_u32_e32 v11, s23, v24
	ds_read_b64 v[18:19], v9
	v_mad_u64_u32 v[20:21], s[28:29], v11, s19, v[0:1]
	v_mov_b32_e32 v21, v15
	v_lshlrev_b64 v[20:21], 3, v[20:21]
	v_mov_b32_e32 v11, s15
	v_add_co_u32_e32 v20, vcc, s14, v20
	v_addc_co_u32_e32 v21, vcc, v11, v21, vcc
	s_waitcnt lgkmcnt(0)
	global_store_dwordx2 v[20:21], v[18:19], off
	s_branch .LBB14_9
.LBB14_44:
	s_endpgm
	.section	.rodata,"a",@progbits
	.p2align	6, 0x0
	.amdhsa_kernel _ZN9rocsparseL39bsrgeam_block_per_row_multipass_kernel2ILj256ELj16EdEEv20rocsparse_direction_iiiNS_24const_host_device_scalarIT1_EEPKiS6_PKS3_S4_S6_S6_S8_S6_PiPS3_21rocsparse_index_base_SB_SB_b
		.amdhsa_group_segment_fixed_size 2056
		.amdhsa_private_segment_fixed_size 0
		.amdhsa_kernarg_size 120
		.amdhsa_user_sgpr_count 6
		.amdhsa_user_sgpr_private_segment_buffer 1
		.amdhsa_user_sgpr_dispatch_ptr 0
		.amdhsa_user_sgpr_queue_ptr 0
		.amdhsa_user_sgpr_kernarg_segment_ptr 1
		.amdhsa_user_sgpr_dispatch_id 0
		.amdhsa_user_sgpr_flat_scratch_init 0
		.amdhsa_user_sgpr_kernarg_preload_length 0
		.amdhsa_user_sgpr_kernarg_preload_offset 0
		.amdhsa_user_sgpr_private_segment_size 0
		.amdhsa_uses_dynamic_stack 0
		.amdhsa_system_sgpr_private_segment_wavefront_offset 0
		.amdhsa_system_sgpr_workgroup_id_x 1
		.amdhsa_system_sgpr_workgroup_id_y 0
		.amdhsa_system_sgpr_workgroup_id_z 0
		.amdhsa_system_sgpr_workgroup_info 0
		.amdhsa_system_vgpr_workitem_id 0
		.amdhsa_next_free_vgpr 32
		.amdhsa_next_free_sgpr 41
		.amdhsa_accum_offset 32
		.amdhsa_reserve_vcc 1
		.amdhsa_reserve_flat_scratch 0
		.amdhsa_float_round_mode_32 0
		.amdhsa_float_round_mode_16_64 0
		.amdhsa_float_denorm_mode_32 3
		.amdhsa_float_denorm_mode_16_64 3
		.amdhsa_dx10_clamp 1
		.amdhsa_ieee_mode 1
		.amdhsa_fp16_overflow 0
		.amdhsa_tg_split 0
		.amdhsa_exception_fp_ieee_invalid_op 0
		.amdhsa_exception_fp_denorm_src 0
		.amdhsa_exception_fp_ieee_div_zero 0
		.amdhsa_exception_fp_ieee_overflow 0
		.amdhsa_exception_fp_ieee_underflow 0
		.amdhsa_exception_fp_ieee_inexact 0
		.amdhsa_exception_int_div_zero 0
	.end_amdhsa_kernel
	.section	.text._ZN9rocsparseL39bsrgeam_block_per_row_multipass_kernel2ILj256ELj16EdEEv20rocsparse_direction_iiiNS_24const_host_device_scalarIT1_EEPKiS6_PKS3_S4_S6_S6_S8_S6_PiPS3_21rocsparse_index_base_SB_SB_b,"axG",@progbits,_ZN9rocsparseL39bsrgeam_block_per_row_multipass_kernel2ILj256ELj16EdEEv20rocsparse_direction_iiiNS_24const_host_device_scalarIT1_EEPKiS6_PKS3_S4_S6_S6_S8_S6_PiPS3_21rocsparse_index_base_SB_SB_b,comdat
.Lfunc_end14:
	.size	_ZN9rocsparseL39bsrgeam_block_per_row_multipass_kernel2ILj256ELj16EdEEv20rocsparse_direction_iiiNS_24const_host_device_scalarIT1_EEPKiS6_PKS3_S4_S6_S6_S8_S6_PiPS3_21rocsparse_index_base_SB_SB_b, .Lfunc_end14-_ZN9rocsparseL39bsrgeam_block_per_row_multipass_kernel2ILj256ELj16EdEEv20rocsparse_direction_iiiNS_24const_host_device_scalarIT1_EEPKiS6_PKS3_S4_S6_S6_S8_S6_PiPS3_21rocsparse_index_base_SB_SB_b
                                        ; -- End function
	.section	.AMDGPU.csdata,"",@progbits
; Kernel info:
; codeLenInByte = 1432
; NumSgprs: 45
; NumVgprs: 32
; NumAgprs: 0
; TotalNumVgprs: 32
; ScratchSize: 0
; MemoryBound: 0
; FloatMode: 240
; IeeeMode: 1
; LDSByteSize: 2056 bytes/workgroup (compile time only)
; SGPRBlocks: 5
; VGPRBlocks: 3
; NumSGPRsForWavesPerEU: 45
; NumVGPRsForWavesPerEU: 32
; AccumOffset: 32
; Occupancy: 8
; WaveLimiterHint : 1
; COMPUTE_PGM_RSRC2:SCRATCH_EN: 0
; COMPUTE_PGM_RSRC2:USER_SGPR: 6
; COMPUTE_PGM_RSRC2:TRAP_HANDLER: 0
; COMPUTE_PGM_RSRC2:TGID_X_EN: 1
; COMPUTE_PGM_RSRC2:TGID_Y_EN: 0
; COMPUTE_PGM_RSRC2:TGID_Z_EN: 0
; COMPUTE_PGM_RSRC2:TIDIG_COMP_CNT: 0
; COMPUTE_PGM_RSRC3_GFX90A:ACCUM_OFFSET: 7
; COMPUTE_PGM_RSRC3_GFX90A:TG_SPLIT: 0
	.section	.text._ZN9rocsparseL39bsrgeam_block_per_row_multipass_kernel2ILj256ELj32EdEEv20rocsparse_direction_iiiNS_24const_host_device_scalarIT1_EEPKiS6_PKS3_S4_S6_S6_S8_S6_PiPS3_21rocsparse_index_base_SB_SB_b,"axG",@progbits,_ZN9rocsparseL39bsrgeam_block_per_row_multipass_kernel2ILj256ELj32EdEEv20rocsparse_direction_iiiNS_24const_host_device_scalarIT1_EEPKiS6_PKS3_S4_S6_S6_S8_S6_PiPS3_21rocsparse_index_base_SB_SB_b,comdat
	.globl	_ZN9rocsparseL39bsrgeam_block_per_row_multipass_kernel2ILj256ELj32EdEEv20rocsparse_direction_iiiNS_24const_host_device_scalarIT1_EEPKiS6_PKS3_S4_S6_S6_S8_S6_PiPS3_21rocsparse_index_base_SB_SB_b ; -- Begin function _ZN9rocsparseL39bsrgeam_block_per_row_multipass_kernel2ILj256ELj32EdEEv20rocsparse_direction_iiiNS_24const_host_device_scalarIT1_EEPKiS6_PKS3_S4_S6_S6_S8_S6_PiPS3_21rocsparse_index_base_SB_SB_b
	.p2align	8
	.type	_ZN9rocsparseL39bsrgeam_block_per_row_multipass_kernel2ILj256ELj32EdEEv20rocsparse_direction_iiiNS_24const_host_device_scalarIT1_EEPKiS6_PKS3_S4_S6_S6_S8_S6_PiPS3_21rocsparse_index_base_SB_SB_b,@function
_ZN9rocsparseL39bsrgeam_block_per_row_multipass_kernel2ILj256ELj32EdEEv20rocsparse_direction_iiiNS_24const_host_device_scalarIT1_EEPKiS6_PKS3_S4_S6_S6_S8_S6_PiPS3_21rocsparse_index_base_SB_SB_b: ; @_ZN9rocsparseL39bsrgeam_block_per_row_multipass_kernel2ILj256ELj32EdEEv20rocsparse_direction_iiiNS_24const_host_device_scalarIT1_EEPKiS6_PKS3_S4_S6_S6_S8_S6_PiPS3_21rocsparse_index_base_SB_SB_b
; %bb.0:
	s_load_dwordx4 s[8:11], s[4:5], 0x68
	s_load_dwordx2 s[22:23], s[4:5], 0x50
	s_load_dwordx4 s[12:15], s[4:5], 0x10
	s_load_dwordx4 s[0:3], s[4:5], 0x30
	s_waitcnt lgkmcnt(0)
	s_bitcmp1_b32 s11, 0
	s_cselect_b64 s[16:17], -1, 0
	s_xor_b64 s[18:19], s[16:17], -1
	s_and_b64 vcc, exec, s[16:17]
	v_pk_mov_b32 v[2:3], s[12:13], s[12:13] op_sel:[0,1]
	s_cbranch_vccnz .LBB15_2
; %bb.1:
	v_pk_mov_b32 v[2:3], s[12:13], s[12:13] op_sel:[0,1]
	flat_load_dwordx2 v[2:3], v[2:3]
.LBB15_2:
	s_load_dwordx2 s[16:17], s[4:5], 0x20
	s_andn2_b64 vcc, exec, s[18:19]
	v_pk_mov_b32 v[4:5], s[0:1], s[0:1] op_sel:[0,1]
	s_cbranch_vccnz .LBB15_4
; %bb.3:
	v_pk_mov_b32 v[4:5], s[0:1], s[0:1] op_sel:[0,1]
	flat_load_dwordx2 v[4:5], v[4:5]
.LBB15_4:
	s_ashr_i32 s7, s6, 31
	s_lshl_b64 s[12:13], s[6:7], 2
	s_add_u32 s14, s14, s12
	s_addc_u32 s15, s15, s13
	s_load_dwordx2 s[0:1], s[14:15], 0x0
	s_load_dwordx2 s[6:7], s[4:5], 0x40
	;; [unrolled: 1-line block ×3, first 2 shown]
	s_waitcnt lgkmcnt(0)
	s_sub_i32 s20, s0, s8
	s_add_u32 s2, s2, s12
	s_addc_u32 s3, s3, s13
	s_load_dwordx2 s[26:27], s[2:3], 0x0
	s_add_u32 s24, s22, s12
	s_addc_u32 s25, s23, s13
	s_cmp_ge_i32 s0, s1
	s_mov_b32 s0, s18
	s_cbranch_scc1 .LBB15_6
; %bb.5:
	s_ashr_i32 s21, s20, 31
	s_lshl_b64 s[2:3], s[20:21], 2
	s_add_u32 s2, s16, s2
	s_addc_u32 s3, s17, s3
	s_load_dword s0, s[2:3], 0x0
	s_waitcnt lgkmcnt(0)
	s_sub_i32 s0, s0, s8
.LBB15_6:
	s_load_dwordx4 s[12:15], s[4:5], 0x58
	s_load_dwordx2 s[2:3], s[4:5], 0x28
	s_load_dwordx2 s[22:23], s[4:5], 0x48
	s_load_dword s21, s[24:25], 0x0
	s_waitcnt lgkmcnt(0)
	s_sub_i32 s24, s26, s9
	s_cmp_ge_i32 s26, s27
	s_mov_b32 s25, s18
	s_cbranch_scc1 .LBB15_8
; %bb.7:
	s_ashr_i32 s25, s24, 31
	s_lshl_b64 s[28:29], s[24:25], 2
	s_add_u32 s28, s6, s28
	s_addc_u32 s29, s7, s29
	s_load_dword s11, s[28:29], 0x0
	s_waitcnt lgkmcnt(0)
	s_sub_i32 s25, s11, s9
.LBB15_8:
	s_sub_i32 s11, s1, s8
	s_load_dword s1, s[4:5], 0x0
	v_and_b32_e32 v1, 7, v0
	v_lshrrev_b32_e32 v0, 3, v0
	s_sub_i32 s33, s27, s9
	s_sub_i32 s26, s21, s10
	s_min_i32 s27, s25, s0
	v_cmp_gt_i32_e32 vcc, s19, v0
	s_waitcnt lgkmcnt(0)
	s_cmp_lg_u32 s1, 0
	v_cmp_gt_u32_e64 s[0:1], s19, v1
	v_or_b32_e32 v13, 8, v1
	s_cselect_b64 s[4:5], -1, 0
	s_and_b64 s[28:29], vcc, s[0:1]
	v_cmp_gt_u32_e64 s[0:1], s19, v13
	v_or_b32_e32 v16, 16, v1
	v_lshlrev_b32_e32 v6, 5, v0
	s_mov_b32 s38, 0
	s_and_b64 s[30:31], vcc, s[0:1]
	v_cmp_gt_u32_e64 s[0:1], s19, v16
	v_or_b32_e32 v19, 24, v1
	v_or_b32_e32 v10, v6, v1
	;; [unrolled: 1-line block ×3, first 2 shown]
	s_and_b64 s[34:35], vcc, s[0:1]
	v_or_b32_e32 v18, v16, v6
	v_cmp_gt_u32_e64 s[0:1], s19, v19
	v_or_b32_e32 v21, v19, v6
	s_mov_b32 s39, s38
	v_cndmask_b32_e64 v6, 0, 1, s[4:5]
	v_lshlrev_b32_e32 v11, 3, v10
	v_lshl_or_b32 v12, v1, 5, v0
	v_lshl_or_b32 v14, v13, 5, v0
	;; [unrolled: 1-line block ×3, first 2 shown]
	s_and_b64 s[36:37], vcc, s[0:1]
	v_lshl_or_b32 v20, v19, 5, v0
	s_mul_i32 s46, s19, s19
	v_mov_b32_e32 v7, 0
	v_pk_mov_b32 v[8:9], s[38:39], s[38:39] op_sel:[0,1]
	v_mov_b32_e32 v22, 1
	v_cmp_ne_u32_e64 s[0:1], 1, v6
	s_branch .LBB15_12
.LBB15_9:                               ;   in Loop: Header=BB15_12 Depth=1
	v_lshlrev_b32_e32 v23, 3, v24
	ds_read_b64 v[24:25], v23
	v_lshlrev_b64 v[26:27], 3, v[6:7]
	v_mov_b32_e32 v6, s15
	v_add_co_u32_e32 v26, vcc, s14, v26
	v_addc_co_u32_e32 v27, vcc, v6, v27, vcc
	s_waitcnt lgkmcnt(0)
	global_store_dwordx2 v[26:27], v[24:25], off
.LBB15_10:                              ;   in Loop: Header=BB15_12 Depth=1
	s_or_b64 exec, exec, s[38:39]
.LBB15_11:                              ;   in Loop: Header=BB15_12 Depth=1
	s_barrier
	ds_read_b32 v6, v7 offset:8192
	s_mov_b32 s27, s25
	s_waitcnt lgkmcnt(0)
	s_barrier
	v_readfirstlane_b32 s21, v6
	s_add_i32 s26, s21, s26
	s_cmp_lt_i32 s25, s18
	s_cbranch_scc0 .LBB15_104
.LBB15_12:                              ; =>This Loop Header: Depth=1
                                        ;     Child Loop BB15_15 Depth 2
                                        ;     Child Loop BB15_49 Depth 2
	s_cmp_ge_i32 s20, s11
	ds_write_b32 v7, v7 offset:8192
	ds_write2_b64 v11, v[8:9], v[8:9] offset1:8
	ds_write2_b64 v11, v[8:9], v[8:9] offset0:16 offset1:24
	s_waitcnt lgkmcnt(0)
	s_barrier
	s_cbranch_scc1 .LBB15_45
; %bb.13:                               ;   in Loop: Header=BB15_12 Depth=1
	s_mul_i32 s21, s19, s20
	v_add_u32_e32 v6, s21, v1
	v_mul_lo_u32 v23, s19, v6
	v_add_u32_e32 v6, s21, v13
	v_mul_lo_u32 v24, s19, v6
	;; [unrolled: 2-line block ×3, first 2 shown]
	v_add_u32_e32 v6, s21, v19
	s_ashr_i32 s21, s20, 31
	s_lshl_b64 s[38:39], s[20:21], 2
	s_add_u32 s38, s16, s38
	v_mul_lo_u32 v26, s19, v6
	s_addc_u32 s39, s17, s39
	v_mov_b32_e32 v27, v0
	s_mov_b32 s25, s18
	s_branch .LBB15_15
.LBB15_14:                              ;   in Loop: Header=BB15_15 Depth=2
	s_add_i32 s20, s20, 1
	s_add_u32 s38, s38, 4
	s_addc_u32 s39, s39, 0
	s_cmp_ge_i32 s20, s11
	v_add_u32_e32 v27, s46, v27
	s_cselect_b64 s[40:41], -1, 0
	s_andn2_b64 vcc, exec, s[40:41]
	s_mov_b32 s25, s21
	s_cbranch_vccz .LBB15_46
.LBB15_15:                              ;   Parent Loop BB15_12 Depth=1
                                        ; =>  This Inner Loop Header: Depth=2
	s_load_dword s21, s[38:39], 0x0
	s_mov_b64 s[42:43], -1
	s_waitcnt lgkmcnt(0)
	s_sub_i32 s44, s21, s8
	s_cmp_eq_u32 s44, s27
	s_cselect_b64 s[40:41], -1, 0
	s_cmp_lg_u32 s44, s27
                                        ; implicit-def: $sgpr21
	s_cbranch_scc1 .LBB15_18
; %bb.16:                               ;   in Loop: Header=BB15_15 Depth=2
	s_andn2_b64 vcc, exec, s[42:43]
	s_cbranch_vccz .LBB15_19
.LBB15_17:                              ;   in Loop: Header=BB15_15 Depth=2
	s_andn2_b64 vcc, exec, s[40:41]
	s_cbranch_vccz .LBB15_14
	s_branch .LBB15_40
.LBB15_18:                              ;   in Loop: Header=BB15_15 Depth=2
	s_min_i32 s21, s44, s25
	s_cbranch_execnz .LBB15_17
.LBB15_19:                              ;   in Loop: Header=BB15_15 Depth=2
	s_mul_i32 s21, s20, s19
	v_add_u32_e32 v6, s21, v0
	v_mul_lo_u32 v28, v6, s19
	ds_write_b32 v7, v22 offset:8192
	s_and_saveexec_b64 s[42:43], s[28:29]
	s_cbranch_execnz .LBB15_23
; %bb.20:                               ;   in Loop: Header=BB15_15 Depth=2
	s_or_b64 exec, exec, s[42:43]
	s_and_saveexec_b64 s[42:43], s[30:31]
	s_cbranch_execnz .LBB15_27
.LBB15_21:                              ;   in Loop: Header=BB15_15 Depth=2
	s_or_b64 exec, exec, s[42:43]
	s_and_saveexec_b64 s[42:43], s[34:35]
	s_cbranch_execnz .LBB15_31
.LBB15_22:                              ;   in Loop: Header=BB15_15 Depth=2
	s_or_b64 exec, exec, s[42:43]
	s_and_saveexec_b64 s[42:43], s[36:37]
	s_cbranch_execnz .LBB15_35
	s_branch .LBB15_39
.LBB15_23:                              ;   in Loop: Header=BB15_15 Depth=2
	s_and_b64 vcc, exec, s[4:5]
	s_cbranch_vccz .LBB15_41
; %bb.24:                               ;   in Loop: Header=BB15_15 Depth=2
	v_add_u32_e32 v6, v23, v27
	v_mov_b32_e32 v29, v12
	s_cbranch_execnz .LBB15_26
.LBB15_25:                              ;   in Loop: Header=BB15_15 Depth=2
	v_add_u32_e32 v6, v28, v1
	v_mov_b32_e32 v29, v10
.LBB15_26:                              ;   in Loop: Header=BB15_15 Depth=2
	v_lshlrev_b64 v[30:31], 3, v[6:7]
	v_mov_b32_e32 v6, s3
	v_add_co_u32_e32 v30, vcc, s2, v30
	v_addc_co_u32_e32 v31, vcc, v6, v31, vcc
	global_load_dwordx2 v[30:31], v[30:31], off
	v_lshlrev_b32_e32 v6, 3, v29
	s_waitcnt vmcnt(0)
	v_mul_f64 v[30:31], v[2:3], v[30:31]
	ds_write_b64 v6, v[30:31]
	s_or_b64 exec, exec, s[42:43]
	s_and_saveexec_b64 s[42:43], s[30:31]
	s_cbranch_execz .LBB15_21
.LBB15_27:                              ;   in Loop: Header=BB15_15 Depth=2
	s_and_b64 vcc, exec, s[0:1]
	s_cbranch_vccnz .LBB15_42
; %bb.28:                               ;   in Loop: Header=BB15_15 Depth=2
	v_add_u32_e32 v6, v24, v27
	v_mov_b32_e32 v29, v14
	s_cbranch_execnz .LBB15_30
.LBB15_29:                              ;   in Loop: Header=BB15_15 Depth=2
	v_add_u32_e32 v6, v28, v13
	v_mov_b32_e32 v29, v15
.LBB15_30:                              ;   in Loop: Header=BB15_15 Depth=2
	v_lshlrev_b64 v[30:31], 3, v[6:7]
	v_mov_b32_e32 v6, s3
	v_add_co_u32_e32 v30, vcc, s2, v30
	v_addc_co_u32_e32 v31, vcc, v6, v31, vcc
	global_load_dwordx2 v[30:31], v[30:31], off
	v_lshlrev_b32_e32 v6, 3, v29
	s_waitcnt vmcnt(0)
	v_mul_f64 v[30:31], v[2:3], v[30:31]
	ds_write_b64 v6, v[30:31]
	s_or_b64 exec, exec, s[42:43]
	s_and_saveexec_b64 s[42:43], s[34:35]
	s_cbranch_execz .LBB15_22
.LBB15_31:                              ;   in Loop: Header=BB15_15 Depth=2
	s_and_b64 vcc, exec, s[0:1]
	s_cbranch_vccnz .LBB15_43
; %bb.32:                               ;   in Loop: Header=BB15_15 Depth=2
	v_add_u32_e32 v6, v25, v27
	v_mov_b32_e32 v29, v17
	s_cbranch_execnz .LBB15_34
.LBB15_33:                              ;   in Loop: Header=BB15_15 Depth=2
	v_add_u32_e32 v6, v28, v16
	v_mov_b32_e32 v29, v18
.LBB15_34:                              ;   in Loop: Header=BB15_15 Depth=2
	v_lshlrev_b64 v[30:31], 3, v[6:7]
	v_mov_b32_e32 v6, s3
	v_add_co_u32_e32 v30, vcc, s2, v30
	v_addc_co_u32_e32 v31, vcc, v6, v31, vcc
	global_load_dwordx2 v[30:31], v[30:31], off
	v_lshlrev_b32_e32 v6, 3, v29
	s_waitcnt vmcnt(0)
	v_mul_f64 v[30:31], v[2:3], v[30:31]
	ds_write_b64 v6, v[30:31]
	s_or_b64 exec, exec, s[42:43]
	s_and_saveexec_b64 s[42:43], s[36:37]
	s_cbranch_execz .LBB15_39
.LBB15_35:                              ;   in Loop: Header=BB15_15 Depth=2
	s_and_b64 vcc, exec, s[0:1]
	s_cbranch_vccnz .LBB15_44
; %bb.36:                               ;   in Loop: Header=BB15_15 Depth=2
	v_add_u32_e32 v6, v26, v27
	v_mov_b32_e32 v29, v20
	s_cbranch_execnz .LBB15_38
.LBB15_37:                              ;   in Loop: Header=BB15_15 Depth=2
	v_add_u32_e32 v6, v28, v19
	v_mov_b32_e32 v29, v21
.LBB15_38:                              ;   in Loop: Header=BB15_15 Depth=2
	v_lshlrev_b64 v[30:31], 3, v[6:7]
	v_mov_b32_e32 v6, s3
	v_add_co_u32_e32 v30, vcc, s2, v30
	v_addc_co_u32_e32 v31, vcc, v6, v31, vcc
	global_load_dwordx2 v[30:31], v[30:31], off
	v_lshlrev_b32_e32 v6, 3, v29
	s_waitcnt vmcnt(0)
	v_mul_f64 v[28:29], v[2:3], v[30:31]
	ds_write_b64 v6, v[28:29]
.LBB15_39:                              ;   in Loop: Header=BB15_15 Depth=2
	s_or_b64 exec, exec, s[42:43]
	s_mov_b32 s21, s25
	s_andn2_b64 vcc, exec, s[40:41]
	s_cbranch_vccz .LBB15_14
.LBB15_40:                              ;   in Loop: Header=BB15_12 Depth=1
                                        ; implicit-def: $vgpr27
                                        ; implicit-def: $sgpr38_sgpr39
	s_mov_b32 s25, s21
	s_branch .LBB15_46
.LBB15_41:                              ;   in Loop: Header=BB15_15 Depth=2
	v_mov_b32_e32 v29, v12
	s_branch .LBB15_25
.LBB15_42:                              ;   in Loop: Header=BB15_15 Depth=2
	v_mov_b32_e32 v29, v14
	s_branch .LBB15_29
.LBB15_43:                              ;   in Loop: Header=BB15_15 Depth=2
	v_mov_b32_e32 v29, v17
	s_branch .LBB15_33
.LBB15_44:                              ;   in Loop: Header=BB15_15 Depth=2
	v_mov_b32_e32 v29, v20
	s_branch .LBB15_37
.LBB15_45:                              ;   in Loop: Header=BB15_12 Depth=1
	s_mov_b32 s21, s18
.LBB15_46:                              ;   in Loop: Header=BB15_12 Depth=1
	s_cmp_ge_i32 s24, s33
	s_waitcnt lgkmcnt(0)
	s_barrier
	s_cbranch_scc1 .LBB15_79
; %bb.47:                               ;   in Loop: Header=BB15_12 Depth=1
	s_mul_i32 s25, s19, s24
	v_add_u32_e32 v6, s25, v1
	v_mul_lo_u32 v23, s19, v6
	v_add_u32_e32 v6, s25, v13
	v_mul_lo_u32 v24, s19, v6
	;; [unrolled: 2-line block ×3, first 2 shown]
	v_add_u32_e32 v6, s25, v19
	s_ashr_i32 s25, s24, 31
	s_lshl_b64 s[38:39], s[24:25], 2
	s_add_u32 s38, s6, s38
	v_mul_lo_u32 v26, s19, v6
	s_addc_u32 s39, s7, s39
	v_mov_b32_e32 v27, v0
	s_branch .LBB15_49
.LBB15_48:                              ;   in Loop: Header=BB15_49 Depth=2
	s_add_i32 s24, s24, 1
	s_add_u32 s38, s38, 4
	s_addc_u32 s39, s39, 0
	s_cmp_ge_i32 s24, s33
	v_add_u32_e32 v27, s46, v27
	s_cselect_b64 s[40:41], -1, 0
	s_andn2_b64 vcc, exec, s[40:41]
	s_mov_b32 s21, s25
	s_cbranch_vccz .LBB15_80
.LBB15_49:                              ;   Parent Loop BB15_12 Depth=1
                                        ; =>  This Inner Loop Header: Depth=2
	s_load_dword s25, s[38:39], 0x0
	s_mov_b64 s[42:43], -1
	s_waitcnt lgkmcnt(0)
	s_sub_i32 s44, s25, s9
	s_cmp_eq_u32 s44, s27
	s_cselect_b64 s[40:41], -1, 0
	s_cmp_lg_u32 s44, s27
                                        ; implicit-def: $sgpr25
	s_cbranch_scc1 .LBB15_52
; %bb.50:                               ;   in Loop: Header=BB15_49 Depth=2
	s_andn2_b64 vcc, exec, s[42:43]
	s_cbranch_vccz .LBB15_53
.LBB15_51:                              ;   in Loop: Header=BB15_49 Depth=2
	s_andn2_b64 vcc, exec, s[40:41]
	s_cbranch_vccz .LBB15_48
	s_branch .LBB15_74
.LBB15_52:                              ;   in Loop: Header=BB15_49 Depth=2
	s_min_i32 s25, s44, s21
	s_cbranch_execnz .LBB15_51
.LBB15_53:                              ;   in Loop: Header=BB15_49 Depth=2
	s_mul_i32 s25, s24, s19
	v_add_u32_e32 v6, s25, v0
	v_mul_lo_u32 v28, v6, s19
	ds_write_b32 v7, v22 offset:8192
	s_and_saveexec_b64 s[42:43], s[28:29]
	s_cbranch_execnz .LBB15_57
; %bb.54:                               ;   in Loop: Header=BB15_49 Depth=2
	s_or_b64 exec, exec, s[42:43]
	s_and_saveexec_b64 s[42:43], s[30:31]
	s_cbranch_execnz .LBB15_61
.LBB15_55:                              ;   in Loop: Header=BB15_49 Depth=2
	s_or_b64 exec, exec, s[42:43]
	s_and_saveexec_b64 s[42:43], s[34:35]
	s_cbranch_execnz .LBB15_65
.LBB15_56:                              ;   in Loop: Header=BB15_49 Depth=2
	s_or_b64 exec, exec, s[42:43]
	s_and_saveexec_b64 s[42:43], s[36:37]
	s_cbranch_execnz .LBB15_69
	s_branch .LBB15_73
.LBB15_57:                              ;   in Loop: Header=BB15_49 Depth=2
	s_and_b64 vcc, exec, s[4:5]
	s_cbranch_vccz .LBB15_75
; %bb.58:                               ;   in Loop: Header=BB15_49 Depth=2
	v_add_u32_e32 v6, v23, v27
	v_mov_b32_e32 v29, v12
	s_cbranch_execnz .LBB15_60
.LBB15_59:                              ;   in Loop: Header=BB15_49 Depth=2
	v_add_u32_e32 v6, v28, v1
	v_mov_b32_e32 v29, v10
.LBB15_60:                              ;   in Loop: Header=BB15_49 Depth=2
	v_lshlrev_b64 v[30:31], 3, v[6:7]
	v_mov_b32_e32 v6, s23
	v_add_co_u32_e32 v30, vcc, s22, v30
	v_addc_co_u32_e32 v31, vcc, v6, v31, vcc
	global_load_dwordx2 v[30:31], v[30:31], off
	v_lshlrev_b32_e32 v6, 3, v29
	ds_read_b64 v[32:33], v6
	s_waitcnt vmcnt(0) lgkmcnt(0)
	v_fmac_f64_e32 v[32:33], v[4:5], v[30:31]
	ds_write_b64 v6, v[32:33]
	s_or_b64 exec, exec, s[42:43]
	s_and_saveexec_b64 s[42:43], s[30:31]
	s_cbranch_execz .LBB15_55
.LBB15_61:                              ;   in Loop: Header=BB15_49 Depth=2
	s_and_b64 vcc, exec, s[0:1]
	s_cbranch_vccnz .LBB15_76
; %bb.62:                               ;   in Loop: Header=BB15_49 Depth=2
	v_add_u32_e32 v6, v24, v27
	v_mov_b32_e32 v29, v14
	s_cbranch_execnz .LBB15_64
.LBB15_63:                              ;   in Loop: Header=BB15_49 Depth=2
	v_add_u32_e32 v6, v28, v13
	v_mov_b32_e32 v29, v15
.LBB15_64:                              ;   in Loop: Header=BB15_49 Depth=2
	v_lshlrev_b64 v[30:31], 3, v[6:7]
	v_mov_b32_e32 v6, s23
	v_add_co_u32_e32 v30, vcc, s22, v30
	v_addc_co_u32_e32 v31, vcc, v6, v31, vcc
	global_load_dwordx2 v[30:31], v[30:31], off
	v_lshlrev_b32_e32 v6, 3, v29
	ds_read_b64 v[32:33], v6
	s_waitcnt vmcnt(0) lgkmcnt(0)
	v_fmac_f64_e32 v[32:33], v[4:5], v[30:31]
	ds_write_b64 v6, v[32:33]
	s_or_b64 exec, exec, s[42:43]
	s_and_saveexec_b64 s[42:43], s[34:35]
	s_cbranch_execz .LBB15_56
.LBB15_65:                              ;   in Loop: Header=BB15_49 Depth=2
	s_and_b64 vcc, exec, s[0:1]
	s_cbranch_vccnz .LBB15_77
; %bb.66:                               ;   in Loop: Header=BB15_49 Depth=2
	v_add_u32_e32 v6, v25, v27
	v_mov_b32_e32 v29, v17
	s_cbranch_execnz .LBB15_68
.LBB15_67:                              ;   in Loop: Header=BB15_49 Depth=2
	v_add_u32_e32 v6, v28, v16
	v_mov_b32_e32 v29, v18
.LBB15_68:                              ;   in Loop: Header=BB15_49 Depth=2
	v_lshlrev_b64 v[30:31], 3, v[6:7]
	v_mov_b32_e32 v6, s23
	v_add_co_u32_e32 v30, vcc, s22, v30
	v_addc_co_u32_e32 v31, vcc, v6, v31, vcc
	global_load_dwordx2 v[30:31], v[30:31], off
	v_lshlrev_b32_e32 v6, 3, v29
	ds_read_b64 v[32:33], v6
	s_waitcnt vmcnt(0) lgkmcnt(0)
	v_fmac_f64_e32 v[32:33], v[4:5], v[30:31]
	ds_write_b64 v6, v[32:33]
	s_or_b64 exec, exec, s[42:43]
	s_and_saveexec_b64 s[42:43], s[36:37]
	s_cbranch_execz .LBB15_73
.LBB15_69:                              ;   in Loop: Header=BB15_49 Depth=2
	s_and_b64 vcc, exec, s[0:1]
	s_cbranch_vccnz .LBB15_78
; %bb.70:                               ;   in Loop: Header=BB15_49 Depth=2
	v_add_u32_e32 v6, v26, v27
	v_mov_b32_e32 v29, v20
	s_cbranch_execnz .LBB15_72
.LBB15_71:                              ;   in Loop: Header=BB15_49 Depth=2
	v_add_u32_e32 v6, v28, v19
	v_mov_b32_e32 v29, v21
.LBB15_72:                              ;   in Loop: Header=BB15_49 Depth=2
	v_lshlrev_b64 v[30:31], 3, v[6:7]
	v_mov_b32_e32 v6, s23
	v_add_co_u32_e32 v30, vcc, s22, v30
	v_addc_co_u32_e32 v31, vcc, v6, v31, vcc
	global_load_dwordx2 v[30:31], v[30:31], off
	v_lshlrev_b32_e32 v6, 3, v29
	ds_read_b64 v[28:29], v6
	s_waitcnt vmcnt(0) lgkmcnt(0)
	v_fmac_f64_e32 v[28:29], v[4:5], v[30:31]
	ds_write_b64 v6, v[28:29]
.LBB15_73:                              ;   in Loop: Header=BB15_49 Depth=2
	s_or_b64 exec, exec, s[42:43]
	s_mov_b32 s25, s21
	s_andn2_b64 vcc, exec, s[40:41]
	s_cbranch_vccz .LBB15_48
.LBB15_74:                              ;   in Loop: Header=BB15_12 Depth=1
                                        ; implicit-def: $vgpr27
                                        ; implicit-def: $sgpr38_sgpr39
	s_mov_b32 s21, s25
	s_branch .LBB15_80
.LBB15_75:                              ;   in Loop: Header=BB15_49 Depth=2
	v_mov_b32_e32 v29, v12
	s_branch .LBB15_59
.LBB15_76:                              ;   in Loop: Header=BB15_49 Depth=2
	v_mov_b32_e32 v29, v14
	s_branch .LBB15_63
.LBB15_77:                              ;   in Loop: Header=BB15_49 Depth=2
	v_mov_b32_e32 v29, v17
	s_branch .LBB15_67
.LBB15_78:                              ;   in Loop: Header=BB15_49 Depth=2
	v_mov_b32_e32 v29, v20
	s_branch .LBB15_71
.LBB15_79:                              ;   in Loop: Header=BB15_12 Depth=1
	s_mov_b32 s25, s21
.LBB15_80:                              ;   in Loop: Header=BB15_12 Depth=1
	s_waitcnt lgkmcnt(0)
	s_barrier
	ds_read_b32 v6, v7 offset:8192
	s_waitcnt lgkmcnt(0)
	v_cmp_eq_u32_e32 vcc, 0, v6
	s_cbranch_vccnz .LBB15_11
; %bb.81:                               ;   in Loop: Header=BB15_12 Depth=1
	s_add_i32 s21, s27, s10
	s_ashr_i32 s27, s26, 31
	s_lshl_b64 s[38:39], s[26:27], 2
	s_add_u32 s38, s12, s38
	s_addc_u32 s39, s13, s39
	v_mov_b32_e32 v6, s21
	s_mul_i32 s21, s26, s19
	global_store_dword v7, v6, s[38:39]
	v_add_u32_e32 v6, s21, v0
	v_mul_lo_u32 v23, v6, s19
	s_and_saveexec_b64 s[38:39], s[28:29]
	s_cbranch_execnz .LBB15_85
; %bb.82:                               ;   in Loop: Header=BB15_12 Depth=1
	s_or_b64 exec, exec, s[38:39]
	s_and_saveexec_b64 s[38:39], s[30:31]
	s_cbranch_execnz .LBB15_89
.LBB15_83:                              ;   in Loop: Header=BB15_12 Depth=1
	s_or_b64 exec, exec, s[38:39]
	s_and_saveexec_b64 s[38:39], s[34:35]
	s_cbranch_execnz .LBB15_93
.LBB15_84:                              ;   in Loop: Header=BB15_12 Depth=1
	s_or_b64 exec, exec, s[38:39]
	s_and_saveexec_b64 s[38:39], s[36:37]
	s_cbranch_execz .LBB15_10
	s_branch .LBB15_97
.LBB15_85:                              ;   in Loop: Header=BB15_12 Depth=1
	s_and_b64 vcc, exec, s[4:5]
	s_cbranch_vccz .LBB15_99
; %bb.86:                               ;   in Loop: Header=BB15_12 Depth=1
	v_add_u32_e32 v6, s21, v1
	v_mad_u64_u32 v[24:25], s[40:41], v6, s19, v[0:1]
	v_mov_b32_e32 v6, v24
	v_mov_b32_e32 v24, v12
	s_cbranch_execnz .LBB15_88
.LBB15_87:                              ;   in Loop: Header=BB15_12 Depth=1
	v_add_u32_e32 v6, v23, v1
	v_mov_b32_e32 v24, v10
.LBB15_88:                              ;   in Loop: Header=BB15_12 Depth=1
	v_lshlrev_b32_e32 v24, 3, v24
	ds_read_b64 v[24:25], v24
	v_lshlrev_b64 v[26:27], 3, v[6:7]
	v_mov_b32_e32 v6, s15
	v_add_co_u32_e32 v26, vcc, s14, v26
	v_addc_co_u32_e32 v27, vcc, v6, v27, vcc
	s_waitcnt lgkmcnt(0)
	global_store_dwordx2 v[26:27], v[24:25], off
	s_or_b64 exec, exec, s[38:39]
	s_and_saveexec_b64 s[38:39], s[30:31]
	s_cbranch_execz .LBB15_83
.LBB15_89:                              ;   in Loop: Header=BB15_12 Depth=1
	s_and_b64 vcc, exec, s[0:1]
	s_cbranch_vccnz .LBB15_100
; %bb.90:                               ;   in Loop: Header=BB15_12 Depth=1
	v_add_u32_e32 v6, s21, v13
	v_mad_u64_u32 v[24:25], s[40:41], v6, s19, v[0:1]
	v_mov_b32_e32 v6, v24
	v_mov_b32_e32 v24, v14
	s_cbranch_execnz .LBB15_92
.LBB15_91:                              ;   in Loop: Header=BB15_12 Depth=1
	v_add_u32_e32 v6, v23, v13
	v_mov_b32_e32 v24, v15
.LBB15_92:                              ;   in Loop: Header=BB15_12 Depth=1
	v_lshlrev_b32_e32 v24, 3, v24
	ds_read_b64 v[24:25], v24
	v_lshlrev_b64 v[26:27], 3, v[6:7]
	v_mov_b32_e32 v6, s15
	v_add_co_u32_e32 v26, vcc, s14, v26
	v_addc_co_u32_e32 v27, vcc, v6, v27, vcc
	s_waitcnt lgkmcnt(0)
	global_store_dwordx2 v[26:27], v[24:25], off
	s_or_b64 exec, exec, s[38:39]
	s_and_saveexec_b64 s[38:39], s[34:35]
	s_cbranch_execz .LBB15_84
.LBB15_93:                              ;   in Loop: Header=BB15_12 Depth=1
	s_and_b64 vcc, exec, s[0:1]
	s_cbranch_vccnz .LBB15_101
; %bb.94:                               ;   in Loop: Header=BB15_12 Depth=1
	v_add_u32_e32 v6, s21, v16
	v_mad_u64_u32 v[24:25], s[40:41], v6, s19, v[0:1]
	v_mov_b32_e32 v6, v24
	v_mov_b32_e32 v24, v17
	s_cbranch_execnz .LBB15_96
.LBB15_95:                              ;   in Loop: Header=BB15_12 Depth=1
	v_add_u32_e32 v6, v23, v16
	v_mov_b32_e32 v24, v18
.LBB15_96:                              ;   in Loop: Header=BB15_12 Depth=1
	v_lshlrev_b32_e32 v24, 3, v24
	ds_read_b64 v[24:25], v24
	v_lshlrev_b64 v[26:27], 3, v[6:7]
	v_mov_b32_e32 v6, s15
	v_add_co_u32_e32 v26, vcc, s14, v26
	v_addc_co_u32_e32 v27, vcc, v6, v27, vcc
	s_waitcnt lgkmcnt(0)
	global_store_dwordx2 v[26:27], v[24:25], off
	s_or_b64 exec, exec, s[38:39]
	s_and_saveexec_b64 s[38:39], s[36:37]
	s_cbranch_execz .LBB15_10
.LBB15_97:                              ;   in Loop: Header=BB15_12 Depth=1
	s_and_b64 vcc, exec, s[0:1]
	s_cbranch_vccnz .LBB15_102
; %bb.98:                               ;   in Loop: Header=BB15_12 Depth=1
	v_add_u32_e32 v6, s21, v19
	v_mad_u64_u32 v[24:25], s[40:41], v6, s19, v[0:1]
	v_mov_b32_e32 v6, v24
	v_mov_b32_e32 v24, v20
	s_cbranch_execnz .LBB15_9
	s_branch .LBB15_103
.LBB15_99:                              ;   in Loop: Header=BB15_12 Depth=1
	v_mov_b32_e32 v24, v12
	s_branch .LBB15_87
.LBB15_100:                             ;   in Loop: Header=BB15_12 Depth=1
	v_mov_b32_e32 v24, v14
	s_branch .LBB15_91
.LBB15_101:                             ;   in Loop: Header=BB15_12 Depth=1
	v_mov_b32_e32 v24, v17
	s_branch .LBB15_95
.LBB15_102:                             ;   in Loop: Header=BB15_12 Depth=1
	v_mov_b32_e32 v24, v20
.LBB15_103:                             ;   in Loop: Header=BB15_12 Depth=1
	v_add_u32_e32 v6, v23, v19
	v_mov_b32_e32 v24, v21
	s_branch .LBB15_9
.LBB15_104:
	s_endpgm
	.section	.rodata,"a",@progbits
	.p2align	6, 0x0
	.amdhsa_kernel _ZN9rocsparseL39bsrgeam_block_per_row_multipass_kernel2ILj256ELj32EdEEv20rocsparse_direction_iiiNS_24const_host_device_scalarIT1_EEPKiS6_PKS3_S4_S6_S6_S8_S6_PiPS3_21rocsparse_index_base_SB_SB_b
		.amdhsa_group_segment_fixed_size 8200
		.amdhsa_private_segment_fixed_size 0
		.amdhsa_kernarg_size 120
		.amdhsa_user_sgpr_count 6
		.amdhsa_user_sgpr_private_segment_buffer 1
		.amdhsa_user_sgpr_dispatch_ptr 0
		.amdhsa_user_sgpr_queue_ptr 0
		.amdhsa_user_sgpr_kernarg_segment_ptr 1
		.amdhsa_user_sgpr_dispatch_id 0
		.amdhsa_user_sgpr_flat_scratch_init 0
		.amdhsa_user_sgpr_kernarg_preload_length 0
		.amdhsa_user_sgpr_kernarg_preload_offset 0
		.amdhsa_user_sgpr_private_segment_size 0
		.amdhsa_uses_dynamic_stack 0
		.amdhsa_system_sgpr_private_segment_wavefront_offset 0
		.amdhsa_system_sgpr_workgroup_id_x 1
		.amdhsa_system_sgpr_workgroup_id_y 0
		.amdhsa_system_sgpr_workgroup_id_z 0
		.amdhsa_system_sgpr_workgroup_info 0
		.amdhsa_system_vgpr_workitem_id 0
		.amdhsa_next_free_vgpr 34
		.amdhsa_next_free_sgpr 47
		.amdhsa_accum_offset 36
		.amdhsa_reserve_vcc 1
		.amdhsa_reserve_flat_scratch 0
		.amdhsa_float_round_mode_32 0
		.amdhsa_float_round_mode_16_64 0
		.amdhsa_float_denorm_mode_32 3
		.amdhsa_float_denorm_mode_16_64 3
		.amdhsa_dx10_clamp 1
		.amdhsa_ieee_mode 1
		.amdhsa_fp16_overflow 0
		.amdhsa_tg_split 0
		.amdhsa_exception_fp_ieee_invalid_op 0
		.amdhsa_exception_fp_denorm_src 0
		.amdhsa_exception_fp_ieee_div_zero 0
		.amdhsa_exception_fp_ieee_overflow 0
		.amdhsa_exception_fp_ieee_underflow 0
		.amdhsa_exception_fp_ieee_inexact 0
		.amdhsa_exception_int_div_zero 0
	.end_amdhsa_kernel
	.section	.text._ZN9rocsparseL39bsrgeam_block_per_row_multipass_kernel2ILj256ELj32EdEEv20rocsparse_direction_iiiNS_24const_host_device_scalarIT1_EEPKiS6_PKS3_S4_S6_S6_S8_S6_PiPS3_21rocsparse_index_base_SB_SB_b,"axG",@progbits,_ZN9rocsparseL39bsrgeam_block_per_row_multipass_kernel2ILj256ELj32EdEEv20rocsparse_direction_iiiNS_24const_host_device_scalarIT1_EEPKiS6_PKS3_S4_S6_S6_S8_S6_PiPS3_21rocsparse_index_base_SB_SB_b,comdat
.Lfunc_end15:
	.size	_ZN9rocsparseL39bsrgeam_block_per_row_multipass_kernel2ILj256ELj32EdEEv20rocsparse_direction_iiiNS_24const_host_device_scalarIT1_EEPKiS6_PKS3_S4_S6_S6_S8_S6_PiPS3_21rocsparse_index_base_SB_SB_b, .Lfunc_end15-_ZN9rocsparseL39bsrgeam_block_per_row_multipass_kernel2ILj256ELj32EdEEv20rocsparse_direction_iiiNS_24const_host_device_scalarIT1_EEPKiS6_PKS3_S4_S6_S6_S8_S6_PiPS3_21rocsparse_index_base_SB_SB_b
                                        ; -- End function
	.section	.AMDGPU.csdata,"",@progbits
; Kernel info:
; codeLenInByte = 2516
; NumSgprs: 51
; NumVgprs: 34
; NumAgprs: 0
; TotalNumVgprs: 34
; ScratchSize: 0
; MemoryBound: 0
; FloatMode: 240
; IeeeMode: 1
; LDSByteSize: 8200 bytes/workgroup (compile time only)
; SGPRBlocks: 6
; VGPRBlocks: 4
; NumSGPRsForWavesPerEU: 51
; NumVGPRsForWavesPerEU: 34
; AccumOffset: 36
; Occupancy: 7
; WaveLimiterHint : 1
; COMPUTE_PGM_RSRC2:SCRATCH_EN: 0
; COMPUTE_PGM_RSRC2:USER_SGPR: 6
; COMPUTE_PGM_RSRC2:TRAP_HANDLER: 0
; COMPUTE_PGM_RSRC2:TGID_X_EN: 1
; COMPUTE_PGM_RSRC2:TGID_Y_EN: 0
; COMPUTE_PGM_RSRC2:TGID_Z_EN: 0
; COMPUTE_PGM_RSRC2:TIDIG_COMP_CNT: 0
; COMPUTE_PGM_RSRC3_GFX90A:ACCUM_OFFSET: 8
; COMPUTE_PGM_RSRC3_GFX90A:TG_SPLIT: 0
	.section	.text._ZN9rocsparseL39bsrgeam_wf_per_row_multipass_2_3_kernelILj256ELj2ELj32E21rocsparse_complex_numIfEEEv20rocsparse_direction_iiiNS_24const_host_device_scalarIT2_EEPKiS8_PKS5_S6_S8_S8_SA_S8_PiPS5_21rocsparse_index_base_SD_SD_b,"axG",@progbits,_ZN9rocsparseL39bsrgeam_wf_per_row_multipass_2_3_kernelILj256ELj2ELj32E21rocsparse_complex_numIfEEEv20rocsparse_direction_iiiNS_24const_host_device_scalarIT2_EEPKiS8_PKS5_S6_S8_S8_SA_S8_PiPS5_21rocsparse_index_base_SD_SD_b,comdat
	.globl	_ZN9rocsparseL39bsrgeam_wf_per_row_multipass_2_3_kernelILj256ELj2ELj32E21rocsparse_complex_numIfEEEv20rocsparse_direction_iiiNS_24const_host_device_scalarIT2_EEPKiS8_PKS5_S6_S8_S8_SA_S8_PiPS5_21rocsparse_index_base_SD_SD_b ; -- Begin function _ZN9rocsparseL39bsrgeam_wf_per_row_multipass_2_3_kernelILj256ELj2ELj32E21rocsparse_complex_numIfEEEv20rocsparse_direction_iiiNS_24const_host_device_scalarIT2_EEPKiS8_PKS5_S6_S8_S8_SA_S8_PiPS5_21rocsparse_index_base_SD_SD_b
	.p2align	8
	.type	_ZN9rocsparseL39bsrgeam_wf_per_row_multipass_2_3_kernelILj256ELj2ELj32E21rocsparse_complex_numIfEEEv20rocsparse_direction_iiiNS_24const_host_device_scalarIT2_EEPKiS8_PKS5_S6_S8_S8_SA_S8_PiPS5_21rocsparse_index_base_SD_SD_b,@function
_ZN9rocsparseL39bsrgeam_wf_per_row_multipass_2_3_kernelILj256ELj2ELj32E21rocsparse_complex_numIfEEEv20rocsparse_direction_iiiNS_24const_host_device_scalarIT2_EEPKiS8_PKS5_S6_S8_S8_SA_S8_PiPS5_21rocsparse_index_base_SD_SD_b: ; @_ZN9rocsparseL39bsrgeam_wf_per_row_multipass_2_3_kernelILj256ELj2ELj32E21rocsparse_complex_numIfEEEv20rocsparse_direction_iiiNS_24const_host_device_scalarIT2_EEPKiS8_PKS5_S6_S8_S8_SA_S8_PiPS5_21rocsparse_index_base_SD_SD_b
; %bb.0:
	s_load_dwordx4 s[8:11], s[4:5], 0x68
	s_load_dwordx2 s[12:13], s[4:5], 0x10
	s_load_dwordx2 s[2:3], s[4:5], 0x30
	s_waitcnt lgkmcnt(0)
	s_bitcmp1_b32 s11, 0
	s_cselect_b64 s[0:1], -1, 0
	s_xor_b64 s[14:15], s[0:1], -1
	s_and_b64 vcc, exec, s[0:1]
	s_mov_b32 s28, s12
	s_cbranch_vccnz .LBB16_2
; %bb.1:
	s_load_dword s28, s[12:13], 0x0
.LBB16_2:
	v_cndmask_b32_e64 v1, 0, 1, s[14:15]
	v_cmp_ne_u32_e64 s[0:1], 1, v1
	s_andn2_b64 vcc, exec, s[14:15]
	s_mov_b32 s29, s13
	s_cbranch_vccz .LBB16_42
; %bb.3:
	s_and_b64 vcc, exec, s[0:1]
	s_mov_b32 s30, s2
	s_cbranch_vccz .LBB16_43
.LBB16_4:
	s_and_b64 vcc, exec, s[0:1]
	s_mov_b32 s31, s3
	s_cbranch_vccnz .LBB16_6
.LBB16_5:
	s_load_dword s31, s[2:3], 0x4
.LBB16_6:
	s_load_dwordx4 s[12:15], s[4:5], 0x0
	s_lshl_b32 s0, s6, 3
	v_lshrrev_b32_e32 v1, 5, v0
	s_and_b32 s0, s0, 0x7fffff8
	v_or_b32_e32 v2, s0, v1
	s_waitcnt lgkmcnt(0)
	v_cmp_gt_i32_e32 vcc, s13, v2
	s_and_saveexec_b64 s[0:1], vcc
	s_cbranch_execz .LBB16_41
; %bb.7:
	s_load_dwordx4 s[16:19], s[4:5], 0x18
	s_load_dwordx4 s[20:23], s[4:5], 0x38
	s_load_dwordx2 s[0:1], s[4:5], 0x50
	v_lshlrev_b32_e32 v6, 2, v2
	s_waitcnt lgkmcnt(0)
	global_load_dwordx2 v[2:3], v6, s[16:17]
	global_load_dwordx2 v[4:5], v6, s[20:21]
	global_load_dword v8, v6, s[0:1]
	s_waitcnt vmcnt(2)
	v_subrev_u32_e32 v6, s8, v2
	v_cmp_lt_i32_e32 vcc, v2, v3
	v_mov_b32_e32 v2, s14
	s_and_saveexec_b64 s[0:1], vcc
	s_cbranch_execz .LBB16_9
; %bb.8:
	v_ashrrev_i32_e32 v7, 31, v6
	v_lshlrev_b64 v[10:11], 2, v[6:7]
	v_mov_b32_e32 v2, s19
	v_add_co_u32_e32 v10, vcc, s18, v10
	v_addc_co_u32_e32 v11, vcc, v2, v11, vcc
	global_load_dword v2, v[10:11], off
	s_waitcnt vmcnt(0)
	v_subrev_u32_e32 v2, s8, v2
.LBB16_9:
	s_or_b64 exec, exec, s[0:1]
	s_load_dwordx4 s[24:27], s[4:5], 0x58
	s_load_dwordx2 s[6:7], s[4:5], 0x28
	s_load_dwordx2 s[16:17], s[4:5], 0x48
	s_waitcnt vmcnt(1)
	v_subrev_u32_e32 v10, s9, v4
	v_cmp_lt_i32_e32 vcc, v4, v5
	v_mov_b32_e32 v4, s14
	s_and_saveexec_b64 s[0:1], vcc
	s_cbranch_execz .LBB16_11
; %bb.10:
	v_ashrrev_i32_e32 v11, 31, v10
	v_lshlrev_b64 v[12:13], 2, v[10:11]
	v_mov_b32_e32 v4, s23
	v_add_co_u32_e32 v12, vcc, s22, v12
	v_addc_co_u32_e32 v13, vcc, v4, v13, vcc
	global_load_dword v4, v[12:13], off
	s_waitcnt vmcnt(0)
	v_subrev_u32_e32 v4, s9, v4
.LBB16_11:
	s_or_b64 exec, exec, s[0:1]
	v_lshlrev_b32_e32 v17, 10, v1
	v_mbcnt_lo_u32_b32 v1, -1, 0
	v_and_b32_e32 v7, 0xe0, v0
	v_and_b32_e32 v0, 31, v0
	v_mbcnt_hi_u32_b32 v1, -1, v1
	v_subrev_u32_e32 v18, s8, v3
	v_min_i32_e32 v31, v4, v2
	v_and_b32_e32 v2, 64, v1
	v_xor_b32_e32 v3, 31, v0
	v_add_u32_e32 v2, 64, v2
	v_lshrrev_b32_e64 v21, v3, -1
	v_xor_b32_e32 v3, 16, v1
	v_cmp_lt_i32_e32 vcc, v3, v2
	v_cndmask_b32_e32 v3, v1, v3, vcc
	v_lshlrev_b32_e32 v23, 2, v3
	v_xor_b32_e32 v3, 8, v1
	v_cmp_lt_i32_e32 vcc, v3, v2
	v_cndmask_b32_e32 v3, v1, v3, vcc
	v_lshlrev_b32_e32 v25, 2, v3
	;; [unrolled: 4-line block ×4, first 2 shown]
	v_xor_b32_e32 v3, 1, v1
	s_mov_b32 s0, 0
	s_cmp_lg_u32 s12, 0
	v_cmp_lt_i32_e32 vcc, v3, v2
	v_or_b32_e32 v16, 0x2000, v7
	s_cselect_b64 s[34:35], -1, 0
	s_xor_b32 s4, s29, 0x80000000
	s_xor_b32 s20, s31, 0x80000000
	v_cndmask_b32_e32 v1, v1, v3, vcc
	s_mov_b32 s1, s0
	s_waitcnt vmcnt(0)
	v_subrev_u32_e32 v20, s10, v8
	v_add_u32_e32 v8, v6, v0
	v_add_u32_e32 v10, v10, v0
	s_cmp_eq_u32 s12, 0
	v_add_u32_e32 v22, s10, v0
	v_lshl_or_b32 v24, v0, 5, v17
	v_lshlrev_b32_e32 v28, 2, v1
	v_add_u32_e32 v29, v16, v0
	s_mov_b32 s2, s0
	s_mov_b32 s3, s0
	v_pk_mov_b32 v[0:1], s[0:1], s[0:1] op_sel:[0,1]
	v_cndmask_b32_e64 v4, 0, 1, s[34:35]
	v_subrev_u32_e32 v19, s9, v5
	v_mov_b32_e32 v13, 0
	s_cselect_b32 s15, 8, 16
	s_cselect_b32 s33, 16, 8
	s_mov_b32 s5, s28
	s_mov_b32 s21, s30
	s_mov_b64 s[10:11], 0
	v_pk_mov_b32 v[2:3], s[2:3], s[2:3] op_sel:[0,1]
	v_cmp_ne_u32_e64 s[0:1], 1, v4
	v_mov_b32_e32 v30, 1
	s_branch .LBB16_13
.LBB16_12:                              ;   in Loop: Header=BB16_13 Depth=1
	s_or_b64 exec, exec, s[12:13]
	ds_bpermute_b32 v4, v23, v32
	s_bcnt1_i32_b64 s2, vcc
	v_add_u32_e32 v20, s2, v20
	s_waitcnt lgkmcnt(0)
	v_min_i32_e32 v4, v4, v32
	ds_bpermute_b32 v5, v25, v4
	s_waitcnt lgkmcnt(0)
	v_min_i32_e32 v4, v5, v4
	ds_bpermute_b32 v5, v26, v4
	;; [unrolled: 3-line block ×4, first 2 shown]
	s_waitcnt lgkmcnt(0)
	v_min_i32_e32 v31, v5, v4
	v_cmp_le_i32_e32 vcc, s14, v31
	s_or_b64 s[10:11], vcc, s[10:11]
	s_andn2_b64 exec, exec, s[10:11]
	s_cbranch_execz .LBB16_41
.LBB16_13:                              ; =>This Loop Header: Depth=1
                                        ;     Child Loop BB16_16 Depth 2
                                        ;     Child Loop BB16_29 Depth 2
	v_cmp_lt_i32_e32 vcc, v8, v18
	v_mov_b32_e32 v32, s14
	ds_write_b8 v29, v13
	ds_write_b128 v24, v[0:3]
	ds_write_b128 v24, v[0:3] offset:16
	s_waitcnt lgkmcnt(0)
	s_and_saveexec_b64 s[12:13], vcc
	s_cbranch_execz .LBB16_26
; %bb.14:                               ;   in Loop: Header=BB16_13 Depth=1
	v_lshlrev_b32_e32 v12, 2, v8
	s_mov_b64 s[34:35], 0
	v_mov_b32_e32 v32, s14
	s_branch .LBB16_16
.LBB16_15:                              ;   in Loop: Header=BB16_16 Depth=2
	s_or_b64 exec, exec, s[38:39]
	s_and_b64 s[2:3], exec, s[36:37]
	s_or_b64 s[34:35], s[2:3], s[34:35]
	s_andn2_b64 exec, exec, s[34:35]
	s_cbranch_execz .LBB16_25
.LBB16_16:                              ;   Parent Loop BB16_13 Depth=1
                                        ; =>  This Inner Loop Header: Depth=2
	v_ashrrev_i32_e32 v9, 31, v8
	v_lshlrev_b64 v[4:5], 2, v[8:9]
	v_mov_b32_e32 v6, s19
	v_add_co_u32_e32 v4, vcc, s18, v4
	v_addc_co_u32_e32 v5, vcc, v6, v5, vcc
	global_load_dword v4, v[4:5], off
	s_waitcnt vmcnt(0)
	v_subrev_u32_e32 v4, s8, v4
	v_sub_u32_e32 v6, v4, v31
	v_cmp_gt_u32_e64 s[2:3], 32, v6
	v_cmp_lt_u32_e32 vcc, 31, v6
	s_and_saveexec_b64 s[36:37], vcc
	s_xor_b64 s[36:37], exec, s[36:37]
; %bb.17:                               ;   in Loop: Header=BB16_16 Depth=2
	v_min_i32_e32 v32, v4, v32
                                        ; implicit-def: $vgpr6
; %bb.18:                               ;   in Loop: Header=BB16_16 Depth=2
	s_andn2_saveexec_b64 s[36:37], s[36:37]
	s_cbranch_execz .LBB16_23
; %bb.19:                               ;   in Loop: Header=BB16_16 Depth=2
	v_lshlrev_b64 v[4:5], 3, v[12:13]
	v_mov_b32_e32 v7, s7
	v_add_co_u32_e32 v4, vcc, s6, v4
	v_addc_co_u32_e32 v5, vcc, v7, v5, vcc
	global_load_dwordx2 v[14:15], v[4:5], off
	v_add_u32_e32 v7, v16, v6
	v_lshlrev_b32_e32 v6, 5, v6
	v_add_u32_e32 v6, v17, v6
	s_and_b64 vcc, exec, s[0:1]
	ds_write_b8 v7, v30
	s_waitcnt vmcnt(0)
	v_pk_mul_f32 v[34:35], v[14:15], s[4:5] op_sel:[1,0]
	v_pk_fma_f32 v[14:15], s[28:29], v[14:15], v[34:35] op_sel_hi:[1,0,1]
	ds_write_b64 v6, v[14:15]
	s_cbranch_vccnz .LBB16_21
; %bb.20:                               ;   in Loop: Header=BB16_16 Depth=2
	global_load_dwordx4 v[34:37], v[4:5], off offset:8
	global_load_dwordx2 v[14:15], v[4:5], off offset:24
	s_waitcnt vmcnt(1)
	v_mov_b32_e32 v38, v37
	s_waitcnt vmcnt(0)
	v_pk_mul_f32 v[42:43], v[14:15], s[4:5] op_sel:[1,0]
	v_pk_mul_f32 v[40:41], v[34:35], s[4:5] op_sel:[1,0]
	v_pk_mul_f32 v[38:39], v[38:39], s[4:5] op_sel_hi:[0,1]
	v_pk_fma_f32 v[14:15], s[28:29], v[14:15], v[42:43] op_sel_hi:[1,0,1]
	v_pk_fma_f32 v[34:35], s[28:29], v[34:35], v[40:41] op_sel_hi:[1,0,1]
	;; [unrolled: 1-line block ×3, first 2 shown]
	ds_write_b64 v6, v[14:15] offset:24
	ds_write2_b64 v6, v[36:37], v[34:35] offset0:1 offset1:2
	s_cbranch_execz .LBB16_22
	s_branch .LBB16_23
.LBB16_21:                              ;   in Loop: Header=BB16_16 Depth=2
.LBB16_22:                              ;   in Loop: Header=BB16_16 Depth=2
	global_load_dwordx4 v[34:37], v[4:5], off offset:8
	global_load_dwordx2 v[14:15], v[4:5], off offset:24
	s_waitcnt vmcnt(1)
	v_pk_mul_f32 v[4:5], v[34:35], s[4:5] op_sel:[1,0]
	v_mov_b32_e32 v38, v37
	v_pk_fma_f32 v[4:5], s[28:29], v[34:35], v[4:5] op_sel_hi:[1,0,1]
	v_pk_mul_f32 v[34:35], v[38:39], s[4:5] op_sel_hi:[0,1]
	s_waitcnt vmcnt(0)
	v_pk_mul_f32 v[40:41], v[14:15], s[4:5] op_sel:[1,0]
	v_pk_fma_f32 v[34:35], s[28:29], v[36:37], v[34:35] op_sel_hi:[1,0,1]
	v_pk_fma_f32 v[14:15], s[28:29], v[14:15], v[40:41] op_sel_hi:[1,0,1]
	ds_write2_b64 v6, v[4:5], v[34:35] offset0:1 offset1:2
	ds_write_b64 v6, v[14:15] offset:24
.LBB16_23:                              ;   in Loop: Header=BB16_16 Depth=2
	s_or_b64 exec, exec, s[36:37]
	s_mov_b64 s[36:37], -1
	s_and_saveexec_b64 s[38:39], s[2:3]
	s_cbranch_execz .LBB16_15
; %bb.24:                               ;   in Loop: Header=BB16_16 Depth=2
	v_add_u32_e32 v8, 32, v8
	v_cmp_ge_i32_e32 vcc, v8, v18
	v_add_u32_e32 v12, 0x80, v12
	s_orn2_b64 s[36:37], vcc, exec
	s_branch .LBB16_15
.LBB16_25:                              ;   in Loop: Header=BB16_13 Depth=1
	s_or_b64 exec, exec, s[34:35]
.LBB16_26:                              ;   in Loop: Header=BB16_13 Depth=1
	s_or_b64 exec, exec, s[12:13]
	v_cmp_lt_i32_e32 vcc, v10, v19
	s_waitcnt lgkmcnt(0)
	s_and_saveexec_b64 s[12:13], vcc
	s_cbranch_execz .LBB16_39
; %bb.27:                               ;   in Loop: Header=BB16_13 Depth=1
	v_lshlrev_b32_e32 v12, 2, v10
	s_mov_b64 s[34:35], 0
	s_branch .LBB16_29
.LBB16_28:                              ;   in Loop: Header=BB16_29 Depth=2
	s_or_b64 exec, exec, s[38:39]
	s_and_b64 s[2:3], exec, s[36:37]
	s_or_b64 s[34:35], s[2:3], s[34:35]
	s_andn2_b64 exec, exec, s[34:35]
	s_cbranch_execz .LBB16_38
.LBB16_29:                              ;   Parent Loop BB16_13 Depth=1
                                        ; =>  This Inner Loop Header: Depth=2
	v_ashrrev_i32_e32 v11, 31, v10
	v_lshlrev_b64 v[4:5], 2, v[10:11]
	v_mov_b32_e32 v6, s23
	v_add_co_u32_e32 v4, vcc, s22, v4
	v_addc_co_u32_e32 v5, vcc, v6, v5, vcc
	global_load_dword v4, v[4:5], off
	s_waitcnt vmcnt(0)
	v_subrev_u32_e32 v4, s9, v4
	v_sub_u32_e32 v11, v4, v31
	v_cmp_gt_u32_e64 s[2:3], 32, v11
	v_cmp_lt_u32_e32 vcc, 31, v11
	s_and_saveexec_b64 s[36:37], vcc
	s_xor_b64 s[36:37], exec, s[36:37]
; %bb.30:                               ;   in Loop: Header=BB16_29 Depth=2
	v_min_i32_e32 v32, v4, v32
                                        ; implicit-def: $vgpr11
; %bb.31:                               ;   in Loop: Header=BB16_29 Depth=2
	s_andn2_saveexec_b64 s[36:37], s[36:37]
	s_cbranch_execz .LBB16_36
; %bb.32:                               ;   in Loop: Header=BB16_29 Depth=2
	v_lshlrev_b64 v[4:5], 3, v[12:13]
	v_mov_b32_e32 v6, s17
	v_add_co_u32_e32 v14, vcc, s16, v4
	v_addc_co_u32_e32 v15, vcc, v6, v5, vcc
	global_load_dwordx2 v[34:35], v[14:15], off
	v_lshlrev_b32_e32 v4, 5, v11
	v_add_u32_e32 v9, v17, v4
	ds_read_b128 v[4:7], v9
	v_add_u32_e32 v11, v16, v11
	s_and_b64 vcc, exec, s[0:1]
	ds_write_b8 v11, v30
	s_waitcnt vmcnt(0) lgkmcnt(1)
	v_pk_fma_f32 v[4:5], s[30:31], v[34:35], v[4:5] op_sel_hi:[1,0,1]
	v_pk_fma_f32 v[4:5], s[20:21], v[34:35], v[4:5] op_sel:[0,1,0]
	ds_write_b64 v9, v[4:5]
	s_cbranch_vccnz .LBB16_34
; %bb.33:                               ;   in Loop: Header=BB16_29 Depth=2
	global_load_dwordx4 v[34:37], v[14:15], off offset:8
	global_load_dwordx2 v[4:5], v[14:15], off offset:24
	ds_read_b128 v[38:41], v9 offset:16
	s_waitcnt vmcnt(1)
	v_pk_fma_f32 v[42:43], s[30:31], v[36:37], v[6:7] op_sel_hi:[1,0,1]
	v_mov_b32_e32 v36, v37
	s_waitcnt lgkmcnt(0)
	v_pk_fma_f32 v[38:39], s[30:31], v[34:35], v[38:39] op_sel_hi:[1,0,1]
	s_waitcnt vmcnt(0)
	v_pk_fma_f32 v[40:41], s[30:31], v[4:5], v[40:41] op_sel_hi:[1,0,1]
	v_pk_fma_f32 v[36:37], s[20:21], v[36:37], v[42:43] op_sel_hi:[1,0,1]
	v_pk_fma_f32 v[34:35], s[20:21], v[34:35], v[38:39] op_sel:[0,1,0]
	v_pk_fma_f32 v[4:5], s[20:21], v[4:5], v[40:41] op_sel:[0,1,0]
	ds_write2_b64 v9, v[36:37], v[34:35] offset0:1 offset1:2
	ds_write_b64 v9, v[4:5] offset:24
	s_cbranch_execz .LBB16_35
	s_branch .LBB16_36
.LBB16_34:                              ;   in Loop: Header=BB16_29 Depth=2
.LBB16_35:                              ;   in Loop: Header=BB16_29 Depth=2
	global_load_dwordx4 v[34:37], v[14:15], off offset:8
	global_load_dwordx2 v[4:5], v[14:15], off offset:24
	ds_read_b128 v[38:41], v9 offset:16
	s_waitcnt vmcnt(1)
	v_pk_fma_f32 v[6:7], s[30:31], v[34:35], v[6:7] op_sel_hi:[1,0,1]
	s_waitcnt lgkmcnt(0)
	v_pk_fma_f32 v[14:15], s[30:31], v[36:37], v[38:39] op_sel_hi:[1,0,1]
	v_mov_b32_e32 v36, v37
	s_waitcnt vmcnt(0)
	v_pk_fma_f32 v[38:39], s[30:31], v[4:5], v[40:41] op_sel_hi:[1,0,1]
	v_pk_fma_f32 v[6:7], s[20:21], v[34:35], v[6:7] op_sel:[0,1,0]
	v_pk_fma_f32 v[14:15], s[20:21], v[36:37], v[14:15] op_sel_hi:[1,0,1]
	v_pk_fma_f32 v[4:5], s[20:21], v[4:5], v[38:39] op_sel:[0,1,0]
	ds_write2_b64 v9, v[6:7], v[14:15] offset0:1 offset1:2
	ds_write_b64 v9, v[4:5] offset:24
.LBB16_36:                              ;   in Loop: Header=BB16_29 Depth=2
	s_or_b64 exec, exec, s[36:37]
	s_mov_b64 s[36:37], -1
	s_and_saveexec_b64 s[38:39], s[2:3]
	s_cbranch_execz .LBB16_28
; %bb.37:                               ;   in Loop: Header=BB16_29 Depth=2
	v_add_u32_e32 v10, 32, v10
	v_cmp_ge_i32_e32 vcc, v10, v19
	v_add_u32_e32 v12, 0x80, v12
	s_orn2_b64 s[36:37], vcc, exec
	s_branch .LBB16_28
.LBB16_38:                              ;   in Loop: Header=BB16_13 Depth=1
	s_or_b64 exec, exec, s[34:35]
.LBB16_39:                              ;   in Loop: Header=BB16_13 Depth=1
	s_or_b64 exec, exec, s[12:13]
	s_waitcnt lgkmcnt(0)
	ds_read_u8 v4, v29
	s_waitcnt lgkmcnt(0)
	v_and_b32_e32 v5, 1, v4
	v_cmp_eq_u32_e64 s[2:3], 1, v5
	v_cmp_ne_u16_e32 vcc, 0, v4
	s_and_saveexec_b64 s[12:13], s[2:3]
	s_cbranch_execz .LBB16_12
; %bb.40:                               ;   in Loop: Header=BB16_13 Depth=1
	v_and_b32_e32 v4, vcc_lo, v21
	v_bcnt_u32_b32 v4, v4, 0
	v_add3_u32 v14, v20, v4, -1
	v_ashrrev_i32_e32 v15, 31, v14
	v_lshlrev_b64 v[4:5], 2, v[14:15]
	v_mov_b32_e32 v7, s25
	v_add_co_u32_e64 v4, s[2:3], s24, v4
	v_add_u32_e32 v6, v22, v31
	v_addc_co_u32_e64 v5, s[2:3], v7, v5, s[2:3]
	global_store_dword v[4:5], v6, off
	ds_read2_b64 v[4:7], v24 offset1:3
	v_add_u32_e32 v11, s15, v24
	v_lshlrev_b32_e32 v12, 2, v14
	v_lshlrev_b64 v[14:15], 3, v[12:13]
	v_mov_b32_e32 v9, s27
	s_waitcnt lgkmcnt(0)
	v_mov_b32_e32 v34, v4
	v_add_u32_e32 v4, s33, v24
	v_mov_b32_e32 v35, v5
	ds_read_b64 v[36:37], v11
	ds_read_b64 v[4:5], v4
	v_add_co_u32_e64 v14, s[2:3], s26, v14
	v_addc_co_u32_e64 v15, s[2:3], v9, v15, s[2:3]
	s_waitcnt lgkmcnt(1)
	global_store_dwordx4 v[14:15], v[34:37], off
	s_waitcnt lgkmcnt(0)
	global_store_dwordx4 v[14:15], v[4:7], off offset:16
	s_branch .LBB16_12
.LBB16_41:
	s_endpgm
.LBB16_42:
	s_load_dword s29, s[12:13], 0x4
	s_and_b64 vcc, exec, s[0:1]
	s_mov_b32 s30, s2
	s_cbranch_vccnz .LBB16_4
.LBB16_43:
	s_load_dword s30, s[2:3], 0x0
	s_and_b64 vcc, exec, s[0:1]
	s_mov_b32 s31, s3
	s_cbranch_vccz .LBB16_5
	s_branch .LBB16_6
	.section	.rodata,"a",@progbits
	.p2align	6, 0x0
	.amdhsa_kernel _ZN9rocsparseL39bsrgeam_wf_per_row_multipass_2_3_kernelILj256ELj2ELj32E21rocsparse_complex_numIfEEEv20rocsparse_direction_iiiNS_24const_host_device_scalarIT2_EEPKiS8_PKS5_S6_S8_S8_SA_S8_PiPS5_21rocsparse_index_base_SD_SD_b
		.amdhsa_group_segment_fixed_size 8448
		.amdhsa_private_segment_fixed_size 0
		.amdhsa_kernarg_size 120
		.amdhsa_user_sgpr_count 6
		.amdhsa_user_sgpr_private_segment_buffer 1
		.amdhsa_user_sgpr_dispatch_ptr 0
		.amdhsa_user_sgpr_queue_ptr 0
		.amdhsa_user_sgpr_kernarg_segment_ptr 1
		.amdhsa_user_sgpr_dispatch_id 0
		.amdhsa_user_sgpr_flat_scratch_init 0
		.amdhsa_user_sgpr_kernarg_preload_length 0
		.amdhsa_user_sgpr_kernarg_preload_offset 0
		.amdhsa_user_sgpr_private_segment_size 0
		.amdhsa_uses_dynamic_stack 0
		.amdhsa_system_sgpr_private_segment_wavefront_offset 0
		.amdhsa_system_sgpr_workgroup_id_x 1
		.amdhsa_system_sgpr_workgroup_id_y 0
		.amdhsa_system_sgpr_workgroup_id_z 0
		.amdhsa_system_sgpr_workgroup_info 0
		.amdhsa_system_vgpr_workitem_id 0
		.amdhsa_next_free_vgpr 44
		.amdhsa_next_free_sgpr 40
		.amdhsa_accum_offset 44
		.amdhsa_reserve_vcc 1
		.amdhsa_reserve_flat_scratch 0
		.amdhsa_float_round_mode_32 0
		.amdhsa_float_round_mode_16_64 0
		.amdhsa_float_denorm_mode_32 3
		.amdhsa_float_denorm_mode_16_64 3
		.amdhsa_dx10_clamp 1
		.amdhsa_ieee_mode 1
		.amdhsa_fp16_overflow 0
		.amdhsa_tg_split 0
		.amdhsa_exception_fp_ieee_invalid_op 0
		.amdhsa_exception_fp_denorm_src 0
		.amdhsa_exception_fp_ieee_div_zero 0
		.amdhsa_exception_fp_ieee_overflow 0
		.amdhsa_exception_fp_ieee_underflow 0
		.amdhsa_exception_fp_ieee_inexact 0
		.amdhsa_exception_int_div_zero 0
	.end_amdhsa_kernel
	.section	.text._ZN9rocsparseL39bsrgeam_wf_per_row_multipass_2_3_kernelILj256ELj2ELj32E21rocsparse_complex_numIfEEEv20rocsparse_direction_iiiNS_24const_host_device_scalarIT2_EEPKiS8_PKS5_S6_S8_S8_SA_S8_PiPS5_21rocsparse_index_base_SD_SD_b,"axG",@progbits,_ZN9rocsparseL39bsrgeam_wf_per_row_multipass_2_3_kernelILj256ELj2ELj32E21rocsparse_complex_numIfEEEv20rocsparse_direction_iiiNS_24const_host_device_scalarIT2_EEPKiS8_PKS5_S6_S8_S8_SA_S8_PiPS5_21rocsparse_index_base_SD_SD_b,comdat
.Lfunc_end16:
	.size	_ZN9rocsparseL39bsrgeam_wf_per_row_multipass_2_3_kernelILj256ELj2ELj32E21rocsparse_complex_numIfEEEv20rocsparse_direction_iiiNS_24const_host_device_scalarIT2_EEPKiS8_PKS5_S6_S8_S8_SA_S8_PiPS5_21rocsparse_index_base_SD_SD_b, .Lfunc_end16-_ZN9rocsparseL39bsrgeam_wf_per_row_multipass_2_3_kernelILj256ELj2ELj32E21rocsparse_complex_numIfEEEv20rocsparse_direction_iiiNS_24const_host_device_scalarIT2_EEPKiS8_PKS5_S6_S8_S8_SA_S8_PiPS5_21rocsparse_index_base_SD_SD_b
                                        ; -- End function
	.section	.AMDGPU.csdata,"",@progbits
; Kernel info:
; codeLenInByte = 1996
; NumSgprs: 44
; NumVgprs: 44
; NumAgprs: 0
; TotalNumVgprs: 44
; ScratchSize: 0
; MemoryBound: 0
; FloatMode: 240
; IeeeMode: 1
; LDSByteSize: 8448 bytes/workgroup (compile time only)
; SGPRBlocks: 5
; VGPRBlocks: 5
; NumSGPRsForWavesPerEU: 44
; NumVGPRsForWavesPerEU: 44
; AccumOffset: 44
; Occupancy: 7
; WaveLimiterHint : 1
; COMPUTE_PGM_RSRC2:SCRATCH_EN: 0
; COMPUTE_PGM_RSRC2:USER_SGPR: 6
; COMPUTE_PGM_RSRC2:TRAP_HANDLER: 0
; COMPUTE_PGM_RSRC2:TGID_X_EN: 1
; COMPUTE_PGM_RSRC2:TGID_Y_EN: 0
; COMPUTE_PGM_RSRC2:TGID_Z_EN: 0
; COMPUTE_PGM_RSRC2:TIDIG_COMP_CNT: 0
; COMPUTE_PGM_RSRC3_GFX90A:ACCUM_OFFSET: 10
; COMPUTE_PGM_RSRC3_GFX90A:TG_SPLIT: 0
	.section	.text._ZN9rocsparseL39bsrgeam_wf_per_row_multipass_2_3_kernelILj256ELj2ELj64E21rocsparse_complex_numIfEEEv20rocsparse_direction_iiiNS_24const_host_device_scalarIT2_EEPKiS8_PKS5_S6_S8_S8_SA_S8_PiPS5_21rocsparse_index_base_SD_SD_b,"axG",@progbits,_ZN9rocsparseL39bsrgeam_wf_per_row_multipass_2_3_kernelILj256ELj2ELj64E21rocsparse_complex_numIfEEEv20rocsparse_direction_iiiNS_24const_host_device_scalarIT2_EEPKiS8_PKS5_S6_S8_S8_SA_S8_PiPS5_21rocsparse_index_base_SD_SD_b,comdat
	.globl	_ZN9rocsparseL39bsrgeam_wf_per_row_multipass_2_3_kernelILj256ELj2ELj64E21rocsparse_complex_numIfEEEv20rocsparse_direction_iiiNS_24const_host_device_scalarIT2_EEPKiS8_PKS5_S6_S8_S8_SA_S8_PiPS5_21rocsparse_index_base_SD_SD_b ; -- Begin function _ZN9rocsparseL39bsrgeam_wf_per_row_multipass_2_3_kernelILj256ELj2ELj64E21rocsparse_complex_numIfEEEv20rocsparse_direction_iiiNS_24const_host_device_scalarIT2_EEPKiS8_PKS5_S6_S8_S8_SA_S8_PiPS5_21rocsparse_index_base_SD_SD_b
	.p2align	8
	.type	_ZN9rocsparseL39bsrgeam_wf_per_row_multipass_2_3_kernelILj256ELj2ELj64E21rocsparse_complex_numIfEEEv20rocsparse_direction_iiiNS_24const_host_device_scalarIT2_EEPKiS8_PKS5_S6_S8_S8_SA_S8_PiPS5_21rocsparse_index_base_SD_SD_b,@function
_ZN9rocsparseL39bsrgeam_wf_per_row_multipass_2_3_kernelILj256ELj2ELj64E21rocsparse_complex_numIfEEEv20rocsparse_direction_iiiNS_24const_host_device_scalarIT2_EEPKiS8_PKS5_S6_S8_S8_SA_S8_PiPS5_21rocsparse_index_base_SD_SD_b: ; @_ZN9rocsparseL39bsrgeam_wf_per_row_multipass_2_3_kernelILj256ELj2ELj64E21rocsparse_complex_numIfEEEv20rocsparse_direction_iiiNS_24const_host_device_scalarIT2_EEPKiS8_PKS5_S6_S8_S8_SA_S8_PiPS5_21rocsparse_index_base_SD_SD_b
; %bb.0:
	s_load_dwordx4 s[8:11], s[4:5], 0x68
	s_load_dwordx2 s[12:13], s[4:5], 0x10
	s_load_dwordx2 s[2:3], s[4:5], 0x30
	s_waitcnt lgkmcnt(0)
	s_bitcmp1_b32 s11, 0
	s_cselect_b64 s[0:1], -1, 0
	s_xor_b64 s[14:15], s[0:1], -1
	s_and_b64 vcc, exec, s[0:1]
	s_mov_b32 s28, s12
	s_cbranch_vccnz .LBB17_2
; %bb.1:
	s_load_dword s28, s[12:13], 0x0
.LBB17_2:
	v_cndmask_b32_e64 v1, 0, 1, s[14:15]
	v_cmp_ne_u32_e64 s[0:1], 1, v1
	s_andn2_b64 vcc, exec, s[14:15]
	s_mov_b32 s29, s13
	s_cbranch_vccz .LBB17_42
; %bb.3:
	s_and_b64 vcc, exec, s[0:1]
	s_mov_b32 s30, s2
	s_cbranch_vccz .LBB17_43
.LBB17_4:
	s_and_b64 vcc, exec, s[0:1]
	s_mov_b32 s31, s3
	s_cbranch_vccnz .LBB17_6
.LBB17_5:
	s_load_dword s31, s[2:3], 0x4
.LBB17_6:
	s_load_dwordx4 s[12:15], s[4:5], 0x0
	s_lshl_b32 s0, s6, 2
	v_lshrrev_b32_e32 v1, 6, v0
	s_and_b32 s0, s0, 0x3fffffc
	v_or_b32_e32 v2, s0, v1
	s_waitcnt lgkmcnt(0)
	v_cmp_gt_i32_e32 vcc, s13, v2
	s_and_saveexec_b64 s[0:1], vcc
	s_cbranch_execz .LBB17_41
; %bb.7:
	s_load_dwordx4 s[16:19], s[4:5], 0x18
	s_load_dwordx4 s[20:23], s[4:5], 0x38
	s_load_dwordx2 s[0:1], s[4:5], 0x50
	v_lshlrev_b32_e32 v6, 2, v2
	s_waitcnt lgkmcnt(0)
	global_load_dwordx2 v[2:3], v6, s[16:17]
	global_load_dwordx2 v[4:5], v6, s[20:21]
	global_load_dword v8, v6, s[0:1]
	s_waitcnt vmcnt(2)
	v_subrev_u32_e32 v6, s8, v2
	v_cmp_lt_i32_e32 vcc, v2, v3
	v_mov_b32_e32 v2, s14
	s_and_saveexec_b64 s[0:1], vcc
	s_cbranch_execz .LBB17_9
; %bb.8:
	v_ashrrev_i32_e32 v7, 31, v6
	v_lshlrev_b64 v[10:11], 2, v[6:7]
	v_mov_b32_e32 v2, s19
	v_add_co_u32_e32 v10, vcc, s18, v10
	v_addc_co_u32_e32 v11, vcc, v2, v11, vcc
	global_load_dword v2, v[10:11], off
	s_waitcnt vmcnt(0)
	v_subrev_u32_e32 v2, s8, v2
.LBB17_9:
	s_or_b64 exec, exec, s[0:1]
	s_load_dwordx4 s[24:27], s[4:5], 0x58
	s_load_dwordx2 s[6:7], s[4:5], 0x28
	s_load_dwordx2 s[16:17], s[4:5], 0x48
	s_waitcnt vmcnt(1)
	v_subrev_u32_e32 v10, s9, v4
	v_cmp_lt_i32_e32 vcc, v4, v5
	v_mov_b32_e32 v4, s14
	s_and_saveexec_b64 s[0:1], vcc
	s_cbranch_execz .LBB17_11
; %bb.10:
	v_ashrrev_i32_e32 v11, 31, v10
	v_lshlrev_b64 v[12:13], 2, v[10:11]
	v_mov_b32_e32 v4, s23
	v_add_co_u32_e32 v12, vcc, s22, v12
	v_addc_co_u32_e32 v13, vcc, v4, v13, vcc
	global_load_dword v4, v[12:13], off
	s_waitcnt vmcnt(0)
	v_subrev_u32_e32 v4, s9, v4
.LBB17_11:
	s_or_b64 exec, exec, s[0:1]
	v_lshlrev_b32_e32 v19, 11, v1
	v_mbcnt_lo_u32_b32 v1, -1, 0
	v_and_b32_e32 v7, 0xc0, v0
	v_and_b32_e32 v0, 63, v0
	v_mbcnt_hi_u32_b32 v1, -1, v1
	v_subrev_u32_e32 v20, s8, v3
	v_min_i32_e32 v33, v4, v2
	v_and_b32_e32 v2, 64, v1
	v_xor_b32_e32 v3, 63, v0
	v_add_u32_e32 v2, 64, v2
	v_lshrrev_b64 v[14:15], v3, -1
	v_xor_b32_e32 v3, 32, v1
	v_cmp_lt_i32_e32 vcc, v3, v2
	v_cndmask_b32_e32 v3, v1, v3, vcc
	v_lshlrev_b32_e32 v24, 2, v3
	v_xor_b32_e32 v3, 16, v1
	v_cmp_lt_i32_e32 vcc, v3, v2
	v_cndmask_b32_e32 v3, v1, v3, vcc
	v_lshlrev_b32_e32 v26, 2, v3
	;; [unrolled: 4-line block ×5, first 2 shown]
	v_xor_b32_e32 v3, 1, v1
	s_mov_b32 s0, 0
	s_cmp_lg_u32 s12, 0
	v_cmp_lt_i32_e32 vcc, v3, v2
	v_or_b32_e32 v18, 0x2000, v7
	s_cselect_b64 s[34:35], -1, 0
	s_xor_b32 s4, s29, 0x80000000
	s_xor_b32 s20, s31, 0x80000000
	v_cndmask_b32_e32 v1, v1, v3, vcc
	s_mov_b32 s1, s0
	s_waitcnt vmcnt(0)
	v_subrev_u32_e32 v22, s10, v8
	v_add_u32_e32 v8, v6, v0
	v_add_u32_e32 v10, v10, v0
	s_cmp_eq_u32 s12, 0
	v_add_u32_e32 v23, s10, v0
	v_lshl_or_b32 v25, v0, 5, v19
	v_lshlrev_b32_e32 v30, 2, v1
	v_add_u32_e32 v31, v18, v0
	s_mov_b32 s2, s0
	s_mov_b32 s3, s0
	v_pk_mov_b32 v[0:1], s[0:1], s[0:1] op_sel:[0,1]
	v_cndmask_b32_e64 v4, 0, 1, s[34:35]
	v_subrev_u32_e32 v21, s9, v5
	v_mov_b32_e32 v13, 0
	s_cselect_b32 s15, 8, 16
	s_cselect_b32 s33, 16, 8
	s_mov_b32 s5, s28
	s_mov_b32 s21, s30
	s_mov_b64 s[10:11], 0
	v_pk_mov_b32 v[2:3], s[2:3], s[2:3] op_sel:[0,1]
	v_cmp_ne_u32_e64 s[0:1], 1, v4
	v_mov_b32_e32 v32, 1
	s_branch .LBB17_13
.LBB17_12:                              ;   in Loop: Header=BB17_13 Depth=1
	s_or_b64 exec, exec, s[12:13]
	ds_bpermute_b32 v4, v24, v34
	s_bcnt1_i32_b64 s2, vcc
	v_add_u32_e32 v22, s2, v22
	s_waitcnt lgkmcnt(0)
	v_min_i32_e32 v4, v4, v34
	ds_bpermute_b32 v5, v26, v4
	s_waitcnt lgkmcnt(0)
	v_min_i32_e32 v4, v5, v4
	ds_bpermute_b32 v5, v27, v4
	;; [unrolled: 3-line block ×5, first 2 shown]
	s_waitcnt lgkmcnt(0)
	v_min_i32_e32 v33, v5, v4
	v_cmp_le_i32_e32 vcc, s14, v33
	s_or_b64 s[10:11], vcc, s[10:11]
	s_andn2_b64 exec, exec, s[10:11]
	s_cbranch_execz .LBB17_41
.LBB17_13:                              ; =>This Loop Header: Depth=1
                                        ;     Child Loop BB17_16 Depth 2
                                        ;     Child Loop BB17_29 Depth 2
	v_cmp_lt_i32_e32 vcc, v8, v20
	v_mov_b32_e32 v34, s14
	ds_write_b8 v31, v13
	ds_write_b128 v25, v[0:3]
	ds_write_b128 v25, v[0:3] offset:16
	s_waitcnt lgkmcnt(0)
	s_and_saveexec_b64 s[12:13], vcc
	s_cbranch_execz .LBB17_26
; %bb.14:                               ;   in Loop: Header=BB17_13 Depth=1
	v_lshlrev_b32_e32 v12, 2, v8
	s_mov_b64 s[34:35], 0
	v_mov_b32_e32 v34, s14
	s_branch .LBB17_16
.LBB17_15:                              ;   in Loop: Header=BB17_16 Depth=2
	s_or_b64 exec, exec, s[38:39]
	s_and_b64 s[2:3], exec, s[36:37]
	s_or_b64 s[34:35], s[2:3], s[34:35]
	s_andn2_b64 exec, exec, s[34:35]
	s_cbranch_execz .LBB17_25
.LBB17_16:                              ;   Parent Loop BB17_13 Depth=1
                                        ; =>  This Inner Loop Header: Depth=2
	v_ashrrev_i32_e32 v9, 31, v8
	v_lshlrev_b64 v[4:5], 2, v[8:9]
	v_mov_b32_e32 v6, s19
	v_add_co_u32_e32 v4, vcc, s18, v4
	v_addc_co_u32_e32 v5, vcc, v6, v5, vcc
	global_load_dword v4, v[4:5], off
	s_waitcnt vmcnt(0)
	v_subrev_u32_e32 v4, s8, v4
	v_sub_u32_e32 v6, v4, v33
	v_cmp_gt_u32_e64 s[2:3], 64, v6
	v_cmp_lt_u32_e32 vcc, 63, v6
	s_and_saveexec_b64 s[36:37], vcc
	s_xor_b64 s[36:37], exec, s[36:37]
; %bb.17:                               ;   in Loop: Header=BB17_16 Depth=2
	v_min_i32_e32 v34, v4, v34
                                        ; implicit-def: $vgpr6
; %bb.18:                               ;   in Loop: Header=BB17_16 Depth=2
	s_andn2_saveexec_b64 s[36:37], s[36:37]
	s_cbranch_execz .LBB17_23
; %bb.19:                               ;   in Loop: Header=BB17_16 Depth=2
	v_lshlrev_b64 v[4:5], 3, v[12:13]
	v_mov_b32_e32 v7, s7
	v_add_co_u32_e32 v4, vcc, s6, v4
	v_addc_co_u32_e32 v5, vcc, v7, v5, vcc
	global_load_dwordx2 v[16:17], v[4:5], off
	v_add_u32_e32 v7, v18, v6
	v_lshlrev_b32_e32 v6, 5, v6
	v_add_u32_e32 v6, v19, v6
	s_and_b64 vcc, exec, s[0:1]
	ds_write_b8 v7, v32
	s_waitcnt vmcnt(0)
	v_pk_mul_f32 v[36:37], v[16:17], s[4:5] op_sel:[1,0]
	v_pk_fma_f32 v[16:17], s[28:29], v[16:17], v[36:37] op_sel_hi:[1,0,1]
	ds_write_b64 v6, v[16:17]
	s_cbranch_vccnz .LBB17_21
; %bb.20:                               ;   in Loop: Header=BB17_16 Depth=2
	global_load_dwordx4 v[36:39], v[4:5], off offset:8
	global_load_dwordx2 v[16:17], v[4:5], off offset:24
	s_waitcnt vmcnt(1)
	v_mov_b32_e32 v40, v39
	s_waitcnt vmcnt(0)
	v_pk_mul_f32 v[44:45], v[16:17], s[4:5] op_sel:[1,0]
	v_pk_mul_f32 v[42:43], v[36:37], s[4:5] op_sel:[1,0]
	v_pk_mul_f32 v[40:41], v[40:41], s[4:5] op_sel_hi:[0,1]
	v_pk_fma_f32 v[16:17], s[28:29], v[16:17], v[44:45] op_sel_hi:[1,0,1]
	v_pk_fma_f32 v[36:37], s[28:29], v[36:37], v[42:43] op_sel_hi:[1,0,1]
	;; [unrolled: 1-line block ×3, first 2 shown]
	ds_write_b64 v6, v[16:17] offset:24
	ds_write2_b64 v6, v[38:39], v[36:37] offset0:1 offset1:2
	s_cbranch_execz .LBB17_22
	s_branch .LBB17_23
.LBB17_21:                              ;   in Loop: Header=BB17_16 Depth=2
.LBB17_22:                              ;   in Loop: Header=BB17_16 Depth=2
	global_load_dwordx4 v[36:39], v[4:5], off offset:8
	global_load_dwordx2 v[16:17], v[4:5], off offset:24
	s_waitcnt vmcnt(1)
	v_pk_mul_f32 v[4:5], v[36:37], s[4:5] op_sel:[1,0]
	v_mov_b32_e32 v40, v39
	v_pk_fma_f32 v[4:5], s[28:29], v[36:37], v[4:5] op_sel_hi:[1,0,1]
	v_pk_mul_f32 v[36:37], v[40:41], s[4:5] op_sel_hi:[0,1]
	s_waitcnt vmcnt(0)
	v_pk_mul_f32 v[42:43], v[16:17], s[4:5] op_sel:[1,0]
	v_pk_fma_f32 v[36:37], s[28:29], v[38:39], v[36:37] op_sel_hi:[1,0,1]
	v_pk_fma_f32 v[16:17], s[28:29], v[16:17], v[42:43] op_sel_hi:[1,0,1]
	ds_write2_b64 v6, v[4:5], v[36:37] offset0:1 offset1:2
	ds_write_b64 v6, v[16:17] offset:24
.LBB17_23:                              ;   in Loop: Header=BB17_16 Depth=2
	s_or_b64 exec, exec, s[36:37]
	s_mov_b64 s[36:37], -1
	s_and_saveexec_b64 s[38:39], s[2:3]
	s_cbranch_execz .LBB17_15
; %bb.24:                               ;   in Loop: Header=BB17_16 Depth=2
	v_add_u32_e32 v8, 64, v8
	v_cmp_ge_i32_e32 vcc, v8, v20
	v_add_u32_e32 v12, 0x100, v12
	s_orn2_b64 s[36:37], vcc, exec
	s_branch .LBB17_15
.LBB17_25:                              ;   in Loop: Header=BB17_13 Depth=1
	s_or_b64 exec, exec, s[34:35]
.LBB17_26:                              ;   in Loop: Header=BB17_13 Depth=1
	s_or_b64 exec, exec, s[12:13]
	v_cmp_lt_i32_e32 vcc, v10, v21
	s_waitcnt lgkmcnt(0)
	s_and_saveexec_b64 s[12:13], vcc
	s_cbranch_execz .LBB17_39
; %bb.27:                               ;   in Loop: Header=BB17_13 Depth=1
	v_lshlrev_b32_e32 v12, 2, v10
	s_mov_b64 s[34:35], 0
	s_branch .LBB17_29
.LBB17_28:                              ;   in Loop: Header=BB17_29 Depth=2
	s_or_b64 exec, exec, s[38:39]
	s_and_b64 s[2:3], exec, s[36:37]
	s_or_b64 s[34:35], s[2:3], s[34:35]
	s_andn2_b64 exec, exec, s[34:35]
	s_cbranch_execz .LBB17_38
.LBB17_29:                              ;   Parent Loop BB17_13 Depth=1
                                        ; =>  This Inner Loop Header: Depth=2
	v_ashrrev_i32_e32 v11, 31, v10
	v_lshlrev_b64 v[4:5], 2, v[10:11]
	v_mov_b32_e32 v6, s23
	v_add_co_u32_e32 v4, vcc, s22, v4
	v_addc_co_u32_e32 v5, vcc, v6, v5, vcc
	global_load_dword v4, v[4:5], off
	s_waitcnt vmcnt(0)
	v_subrev_u32_e32 v4, s9, v4
	v_sub_u32_e32 v11, v4, v33
	v_cmp_gt_u32_e64 s[2:3], 64, v11
	v_cmp_lt_u32_e32 vcc, 63, v11
	s_and_saveexec_b64 s[36:37], vcc
	s_xor_b64 s[36:37], exec, s[36:37]
; %bb.30:                               ;   in Loop: Header=BB17_29 Depth=2
	v_min_i32_e32 v34, v4, v34
                                        ; implicit-def: $vgpr11
; %bb.31:                               ;   in Loop: Header=BB17_29 Depth=2
	s_andn2_saveexec_b64 s[36:37], s[36:37]
	s_cbranch_execz .LBB17_36
; %bb.32:                               ;   in Loop: Header=BB17_29 Depth=2
	v_lshlrev_b64 v[4:5], 3, v[12:13]
	v_mov_b32_e32 v6, s17
	v_add_co_u32_e32 v16, vcc, s16, v4
	v_addc_co_u32_e32 v17, vcc, v6, v5, vcc
	global_load_dwordx2 v[36:37], v[16:17], off
	v_lshlrev_b32_e32 v4, 5, v11
	v_add_u32_e32 v9, v19, v4
	ds_read_b128 v[4:7], v9
	v_add_u32_e32 v11, v18, v11
	s_and_b64 vcc, exec, s[0:1]
	ds_write_b8 v11, v32
	s_waitcnt vmcnt(0) lgkmcnt(1)
	v_pk_fma_f32 v[4:5], s[30:31], v[36:37], v[4:5] op_sel_hi:[1,0,1]
	v_pk_fma_f32 v[4:5], s[20:21], v[36:37], v[4:5] op_sel:[0,1,0]
	ds_write_b64 v9, v[4:5]
	s_cbranch_vccnz .LBB17_34
; %bb.33:                               ;   in Loop: Header=BB17_29 Depth=2
	global_load_dwordx4 v[36:39], v[16:17], off offset:8
	global_load_dwordx2 v[4:5], v[16:17], off offset:24
	ds_read_b128 v[40:43], v9 offset:16
	s_waitcnt vmcnt(1)
	v_pk_fma_f32 v[44:45], s[30:31], v[38:39], v[6:7] op_sel_hi:[1,0,1]
	v_mov_b32_e32 v38, v39
	s_waitcnt lgkmcnt(0)
	v_pk_fma_f32 v[40:41], s[30:31], v[36:37], v[40:41] op_sel_hi:[1,0,1]
	s_waitcnt vmcnt(0)
	v_pk_fma_f32 v[42:43], s[30:31], v[4:5], v[42:43] op_sel_hi:[1,0,1]
	v_pk_fma_f32 v[38:39], s[20:21], v[38:39], v[44:45] op_sel_hi:[1,0,1]
	v_pk_fma_f32 v[36:37], s[20:21], v[36:37], v[40:41] op_sel:[0,1,0]
	v_pk_fma_f32 v[4:5], s[20:21], v[4:5], v[42:43] op_sel:[0,1,0]
	ds_write2_b64 v9, v[38:39], v[36:37] offset0:1 offset1:2
	ds_write_b64 v9, v[4:5] offset:24
	s_cbranch_execz .LBB17_35
	s_branch .LBB17_36
.LBB17_34:                              ;   in Loop: Header=BB17_29 Depth=2
.LBB17_35:                              ;   in Loop: Header=BB17_29 Depth=2
	global_load_dwordx4 v[36:39], v[16:17], off offset:8
	global_load_dwordx2 v[4:5], v[16:17], off offset:24
	ds_read_b128 v[40:43], v9 offset:16
	s_waitcnt vmcnt(1)
	v_pk_fma_f32 v[6:7], s[30:31], v[36:37], v[6:7] op_sel_hi:[1,0,1]
	s_waitcnt lgkmcnt(0)
	v_pk_fma_f32 v[16:17], s[30:31], v[38:39], v[40:41] op_sel_hi:[1,0,1]
	v_mov_b32_e32 v38, v39
	s_waitcnt vmcnt(0)
	v_pk_fma_f32 v[40:41], s[30:31], v[4:5], v[42:43] op_sel_hi:[1,0,1]
	v_pk_fma_f32 v[6:7], s[20:21], v[36:37], v[6:7] op_sel:[0,1,0]
	v_pk_fma_f32 v[16:17], s[20:21], v[38:39], v[16:17] op_sel_hi:[1,0,1]
	v_pk_fma_f32 v[4:5], s[20:21], v[4:5], v[40:41] op_sel:[0,1,0]
	ds_write2_b64 v9, v[6:7], v[16:17] offset0:1 offset1:2
	ds_write_b64 v9, v[4:5] offset:24
.LBB17_36:                              ;   in Loop: Header=BB17_29 Depth=2
	s_or_b64 exec, exec, s[36:37]
	s_mov_b64 s[36:37], -1
	s_and_saveexec_b64 s[38:39], s[2:3]
	s_cbranch_execz .LBB17_28
; %bb.37:                               ;   in Loop: Header=BB17_29 Depth=2
	v_add_u32_e32 v10, 64, v10
	v_cmp_ge_i32_e32 vcc, v10, v21
	v_add_u32_e32 v12, 0x100, v12
	s_orn2_b64 s[36:37], vcc, exec
	s_branch .LBB17_28
.LBB17_38:                              ;   in Loop: Header=BB17_13 Depth=1
	s_or_b64 exec, exec, s[34:35]
.LBB17_39:                              ;   in Loop: Header=BB17_13 Depth=1
	s_or_b64 exec, exec, s[12:13]
	s_waitcnt lgkmcnt(0)
	ds_read_u8 v4, v31
	s_waitcnt lgkmcnt(0)
	v_and_b32_e32 v5, 1, v4
	v_cmp_eq_u32_e64 s[2:3], 1, v5
	v_cmp_ne_u16_e32 vcc, 0, v4
	s_and_saveexec_b64 s[12:13], s[2:3]
	s_cbranch_execz .LBB17_12
; %bb.40:                               ;   in Loop: Header=BB17_13 Depth=1
	v_and_b32_e32 v5, vcc_lo, v14
	v_and_b32_e32 v4, vcc_hi, v15
	v_bcnt_u32_b32 v5, v5, 0
	v_bcnt_u32_b32 v4, v4, v5
	v_add3_u32 v16, v22, v4, -1
	v_ashrrev_i32_e32 v17, 31, v16
	v_lshlrev_b64 v[4:5], 2, v[16:17]
	v_mov_b32_e32 v7, s25
	v_add_co_u32_e64 v4, s[2:3], s24, v4
	v_add_u32_e32 v6, v23, v33
	v_addc_co_u32_e64 v5, s[2:3], v7, v5, s[2:3]
	global_store_dword v[4:5], v6, off
	ds_read2_b64 v[4:7], v25 offset1:3
	v_add_u32_e32 v11, s15, v25
	v_lshlrev_b32_e32 v12, 2, v16
	v_lshlrev_b64 v[16:17], 3, v[12:13]
	v_mov_b32_e32 v9, s27
	s_waitcnt lgkmcnt(0)
	v_mov_b32_e32 v36, v4
	v_add_u32_e32 v4, s33, v25
	v_mov_b32_e32 v37, v5
	ds_read_b64 v[38:39], v11
	ds_read_b64 v[4:5], v4
	v_add_co_u32_e64 v16, s[2:3], s26, v16
	v_addc_co_u32_e64 v17, s[2:3], v9, v17, s[2:3]
	s_waitcnt lgkmcnt(1)
	global_store_dwordx4 v[16:17], v[36:39], off
	s_waitcnt lgkmcnt(0)
	global_store_dwordx4 v[16:17], v[4:7], off offset:16
	s_branch .LBB17_12
.LBB17_41:
	s_endpgm
.LBB17_42:
	s_load_dword s29, s[12:13], 0x4
	s_and_b64 vcc, exec, s[0:1]
	s_mov_b32 s30, s2
	s_cbranch_vccnz .LBB17_4
.LBB17_43:
	s_load_dword s30, s[2:3], 0x0
	s_and_b64 vcc, exec, s[0:1]
	s_mov_b32 s31, s3
	s_cbranch_vccz .LBB17_5
	s_branch .LBB17_6
	.section	.rodata,"a",@progbits
	.p2align	6, 0x0
	.amdhsa_kernel _ZN9rocsparseL39bsrgeam_wf_per_row_multipass_2_3_kernelILj256ELj2ELj64E21rocsparse_complex_numIfEEEv20rocsparse_direction_iiiNS_24const_host_device_scalarIT2_EEPKiS8_PKS5_S6_S8_S8_SA_S8_PiPS5_21rocsparse_index_base_SD_SD_b
		.amdhsa_group_segment_fixed_size 8448
		.amdhsa_private_segment_fixed_size 0
		.amdhsa_kernarg_size 120
		.amdhsa_user_sgpr_count 6
		.amdhsa_user_sgpr_private_segment_buffer 1
		.amdhsa_user_sgpr_dispatch_ptr 0
		.amdhsa_user_sgpr_queue_ptr 0
		.amdhsa_user_sgpr_kernarg_segment_ptr 1
		.amdhsa_user_sgpr_dispatch_id 0
		.amdhsa_user_sgpr_flat_scratch_init 0
		.amdhsa_user_sgpr_kernarg_preload_length 0
		.amdhsa_user_sgpr_kernarg_preload_offset 0
		.amdhsa_user_sgpr_private_segment_size 0
		.amdhsa_uses_dynamic_stack 0
		.amdhsa_system_sgpr_private_segment_wavefront_offset 0
		.amdhsa_system_sgpr_workgroup_id_x 1
		.amdhsa_system_sgpr_workgroup_id_y 0
		.amdhsa_system_sgpr_workgroup_id_z 0
		.amdhsa_system_sgpr_workgroup_info 0
		.amdhsa_system_vgpr_workitem_id 0
		.amdhsa_next_free_vgpr 46
		.amdhsa_next_free_sgpr 40
		.amdhsa_accum_offset 48
		.amdhsa_reserve_vcc 1
		.amdhsa_reserve_flat_scratch 0
		.amdhsa_float_round_mode_32 0
		.amdhsa_float_round_mode_16_64 0
		.amdhsa_float_denorm_mode_32 3
		.amdhsa_float_denorm_mode_16_64 3
		.amdhsa_dx10_clamp 1
		.amdhsa_ieee_mode 1
		.amdhsa_fp16_overflow 0
		.amdhsa_tg_split 0
		.amdhsa_exception_fp_ieee_invalid_op 0
		.amdhsa_exception_fp_denorm_src 0
		.amdhsa_exception_fp_ieee_div_zero 0
		.amdhsa_exception_fp_ieee_overflow 0
		.amdhsa_exception_fp_ieee_underflow 0
		.amdhsa_exception_fp_ieee_inexact 0
		.amdhsa_exception_int_div_zero 0
	.end_amdhsa_kernel
	.section	.text._ZN9rocsparseL39bsrgeam_wf_per_row_multipass_2_3_kernelILj256ELj2ELj64E21rocsparse_complex_numIfEEEv20rocsparse_direction_iiiNS_24const_host_device_scalarIT2_EEPKiS8_PKS5_S6_S8_S8_SA_S8_PiPS5_21rocsparse_index_base_SD_SD_b,"axG",@progbits,_ZN9rocsparseL39bsrgeam_wf_per_row_multipass_2_3_kernelILj256ELj2ELj64E21rocsparse_complex_numIfEEEv20rocsparse_direction_iiiNS_24const_host_device_scalarIT2_EEPKiS8_PKS5_S6_S8_S8_SA_S8_PiPS5_21rocsparse_index_base_SD_SD_b,comdat
.Lfunc_end17:
	.size	_ZN9rocsparseL39bsrgeam_wf_per_row_multipass_2_3_kernelILj256ELj2ELj64E21rocsparse_complex_numIfEEEv20rocsparse_direction_iiiNS_24const_host_device_scalarIT2_EEPKiS8_PKS5_S6_S8_S8_SA_S8_PiPS5_21rocsparse_index_base_SD_SD_b, .Lfunc_end17-_ZN9rocsparseL39bsrgeam_wf_per_row_multipass_2_3_kernelILj256ELj2ELj64E21rocsparse_complex_numIfEEEv20rocsparse_direction_iiiNS_24const_host_device_scalarIT2_EEPKiS8_PKS5_S6_S8_S8_SA_S8_PiPS5_21rocsparse_index_base_SD_SD_b
                                        ; -- End function
	.section	.AMDGPU.csdata,"",@progbits
; Kernel info:
; codeLenInByte = 2040
; NumSgprs: 44
; NumVgprs: 46
; NumAgprs: 0
; TotalNumVgprs: 46
; ScratchSize: 0
; MemoryBound: 0
; FloatMode: 240
; IeeeMode: 1
; LDSByteSize: 8448 bytes/workgroup (compile time only)
; SGPRBlocks: 5
; VGPRBlocks: 5
; NumSGPRsForWavesPerEU: 44
; NumVGPRsForWavesPerEU: 46
; AccumOffset: 48
; Occupancy: 7
; WaveLimiterHint : 1
; COMPUTE_PGM_RSRC2:SCRATCH_EN: 0
; COMPUTE_PGM_RSRC2:USER_SGPR: 6
; COMPUTE_PGM_RSRC2:TRAP_HANDLER: 0
; COMPUTE_PGM_RSRC2:TGID_X_EN: 1
; COMPUTE_PGM_RSRC2:TGID_Y_EN: 0
; COMPUTE_PGM_RSRC2:TGID_Z_EN: 0
; COMPUTE_PGM_RSRC2:TIDIG_COMP_CNT: 0
; COMPUTE_PGM_RSRC3_GFX90A:ACCUM_OFFSET: 11
; COMPUTE_PGM_RSRC3_GFX90A:TG_SPLIT: 0
	.section	.text._ZN9rocsparseL39bsrgeam_wf_per_row_multipass_2_3_kernelILj256ELj3ELj32E21rocsparse_complex_numIfEEEv20rocsparse_direction_iiiNS_24const_host_device_scalarIT2_EEPKiS8_PKS5_S6_S8_S8_SA_S8_PiPS5_21rocsparse_index_base_SD_SD_b,"axG",@progbits,_ZN9rocsparseL39bsrgeam_wf_per_row_multipass_2_3_kernelILj256ELj3ELj32E21rocsparse_complex_numIfEEEv20rocsparse_direction_iiiNS_24const_host_device_scalarIT2_EEPKiS8_PKS5_S6_S8_S8_SA_S8_PiPS5_21rocsparse_index_base_SD_SD_b,comdat
	.globl	_ZN9rocsparseL39bsrgeam_wf_per_row_multipass_2_3_kernelILj256ELj3ELj32E21rocsparse_complex_numIfEEEv20rocsparse_direction_iiiNS_24const_host_device_scalarIT2_EEPKiS8_PKS5_S6_S8_S8_SA_S8_PiPS5_21rocsparse_index_base_SD_SD_b ; -- Begin function _ZN9rocsparseL39bsrgeam_wf_per_row_multipass_2_3_kernelILj256ELj3ELj32E21rocsparse_complex_numIfEEEv20rocsparse_direction_iiiNS_24const_host_device_scalarIT2_EEPKiS8_PKS5_S6_S8_S8_SA_S8_PiPS5_21rocsparse_index_base_SD_SD_b
	.p2align	8
	.type	_ZN9rocsparseL39bsrgeam_wf_per_row_multipass_2_3_kernelILj256ELj3ELj32E21rocsparse_complex_numIfEEEv20rocsparse_direction_iiiNS_24const_host_device_scalarIT2_EEPKiS8_PKS5_S6_S8_S8_SA_S8_PiPS5_21rocsparse_index_base_SD_SD_b,@function
_ZN9rocsparseL39bsrgeam_wf_per_row_multipass_2_3_kernelILj256ELj3ELj32E21rocsparse_complex_numIfEEEv20rocsparse_direction_iiiNS_24const_host_device_scalarIT2_EEPKiS8_PKS5_S6_S8_S8_SA_S8_PiPS5_21rocsparse_index_base_SD_SD_b: ; @_ZN9rocsparseL39bsrgeam_wf_per_row_multipass_2_3_kernelILj256ELj3ELj32E21rocsparse_complex_numIfEEEv20rocsparse_direction_iiiNS_24const_host_device_scalarIT2_EEPKiS8_PKS5_S6_S8_S8_SA_S8_PiPS5_21rocsparse_index_base_SD_SD_b
; %bb.0:
	s_load_dwordx4 s[8:11], s[4:5], 0x68
	s_load_dwordx2 s[12:13], s[4:5], 0x10
	s_load_dwordx2 s[2:3], s[4:5], 0x30
	s_waitcnt lgkmcnt(0)
	s_bitcmp1_b32 s11, 0
	s_cselect_b64 s[0:1], -1, 0
	s_xor_b64 s[14:15], s[0:1], -1
	s_and_b64 vcc, exec, s[0:1]
	s_mov_b32 s28, s12
	s_cbranch_vccnz .LBB18_2
; %bb.1:
	s_load_dword s28, s[12:13], 0x0
.LBB18_2:
	v_cndmask_b32_e64 v1, 0, 1, s[14:15]
	v_cmp_ne_u32_e64 s[0:1], 1, v1
	s_andn2_b64 vcc, exec, s[14:15]
	s_mov_b32 s29, s13
	s_cbranch_vccz .LBB18_42
; %bb.3:
	s_and_b64 vcc, exec, s[0:1]
	s_mov_b32 s30, s2
	s_cbranch_vccz .LBB18_43
.LBB18_4:
	s_and_b64 vcc, exec, s[0:1]
	s_mov_b32 s31, s3
	s_cbranch_vccnz .LBB18_6
.LBB18_5:
	s_load_dword s31, s[2:3], 0x4
.LBB18_6:
	s_load_dwordx4 s[12:15], s[4:5], 0x0
	s_lshl_b32 s0, s6, 3
	v_lshrrev_b32_e32 v1, 5, v0
	s_and_b32 s0, s0, 0x7fffff8
	v_or_b32_e32 v2, s0, v1
	s_waitcnt lgkmcnt(0)
	v_cmp_gt_i32_e32 vcc, s13, v2
	s_and_saveexec_b64 s[0:1], vcc
	s_cbranch_execz .LBB18_41
; %bb.7:
	s_load_dwordx4 s[16:19], s[4:5], 0x18
	s_load_dwordx4 s[20:23], s[4:5], 0x38
	s_load_dwordx2 s[0:1], s[4:5], 0x50
	v_lshlrev_b32_e32 v6, 2, v2
	s_waitcnt lgkmcnt(0)
	global_load_dwordx2 v[2:3], v6, s[16:17]
	global_load_dwordx2 v[4:5], v6, s[20:21]
	global_load_dword v10, v6, s[0:1]
	s_waitcnt vmcnt(2)
	v_subrev_u32_e32 v6, s8, v2
	v_cmp_lt_i32_e32 vcc, v2, v3
	v_mov_b32_e32 v2, s14
	s_and_saveexec_b64 s[0:1], vcc
	s_cbranch_execz .LBB18_9
; %bb.8:
	v_ashrrev_i32_e32 v7, 31, v6
	v_lshlrev_b64 v[8:9], 2, v[6:7]
	v_mov_b32_e32 v2, s19
	v_add_co_u32_e32 v8, vcc, s18, v8
	v_addc_co_u32_e32 v9, vcc, v2, v9, vcc
	global_load_dword v2, v[8:9], off
	s_waitcnt vmcnt(0)
	v_subrev_u32_e32 v2, s8, v2
.LBB18_9:
	s_or_b64 exec, exec, s[0:1]
	s_load_dwordx4 s[24:27], s[4:5], 0x58
	s_load_dwordx2 s[6:7], s[4:5], 0x28
	s_load_dwordx2 s[16:17], s[4:5], 0x48
	s_waitcnt vmcnt(1)
	v_subrev_u32_e32 v8, s9, v4
	v_cmp_lt_i32_e32 vcc, v4, v5
	v_mov_b32_e32 v4, s14
	s_and_saveexec_b64 s[0:1], vcc
	s_cbranch_execz .LBB18_11
; %bb.10:
	v_ashrrev_i32_e32 v9, 31, v8
	v_lshlrev_b64 v[12:13], 2, v[8:9]
	v_mov_b32_e32 v4, s23
	v_add_co_u32_e32 v12, vcc, s22, v12
	v_addc_co_u32_e32 v13, vcc, v4, v13, vcc
	global_load_dword v4, v[12:13], off
	s_waitcnt vmcnt(0)
	v_subrev_u32_e32 v4, s9, v4
.LBB18_11:
	s_or_b64 exec, exec, s[0:1]
	v_mul_u32_u24_e32 v1, 0x120, v1
	v_lshlrev_b32_e32 v29, 3, v1
	v_mbcnt_lo_u32_b32 v1, -1, 0
	v_and_b32_e32 v7, 0xe0, v0
	v_and_b32_e32 v0, 31, v0
	v_mbcnt_hi_u32_b32 v1, -1, v1
	v_subrev_u32_e32 v30, s8, v3
	v_min_i32_e32 v44, v4, v2
	v_and_b32_e32 v2, 64, v1
	v_xor_b32_e32 v3, 31, v0
	v_add_u32_e32 v2, 64, v2
	v_lshrrev_b32_e64 v34, v3, -1
	v_xor_b32_e32 v3, 16, v1
	v_cmp_lt_i32_e32 vcc, v3, v2
	v_cndmask_b32_e32 v3, v1, v3, vcc
	v_lshlrev_b32_e32 v36, 2, v3
	v_xor_b32_e32 v3, 8, v1
	v_cmp_lt_i32_e32 vcc, v3, v2
	v_cndmask_b32_e32 v3, v1, v3, vcc
	v_lshlrev_b32_e32 v37, 2, v3
	;; [unrolled: 4-line block ×3, first 2 shown]
	v_xor_b32_e32 v3, 2, v1
	v_cmp_lt_i32_e32 vcc, v3, v2
	v_cndmask_b32_e32 v3, v1, v3, vcc
	s_cmp_lg_u32 s12, 0
	v_lshlrev_b32_e32 v39, 2, v3
	v_xor_b32_e32 v3, 1, v1
	v_or_b32_e32 v28, 0x4800, v7
	s_movk_i32 s15, 0x48
	s_mov_b32 s0, 0
	s_cselect_b64 s[2:3], -1, 0
	s_xor_b32 s4, s29, 0x80000000
	s_xor_b32 s20, s31, 0x80000000
	v_cmp_lt_i32_e32 vcc, v3, v2
	v_add_u32_e32 v4, v6, v0
	v_add_u32_e32 v6, v8, v0
	v_mad_u32_u24 v33, v0, s15, v29
	v_mov_b32_e32 v9, 0
	s_cmp_eq_u32 s12, 0
	v_add_u32_e32 v35, s10, v0
	v_cndmask_b32_e32 v1, v1, v3, vcc
	v_add_u32_e32 v41, v28, v0
	s_mov_b32 s1, s0
	s_mov_b32 s12, s0
	;; [unrolled: 1-line block ×3, first 2 shown]
	v_cndmask_b32_e64 v0, 0, 1, s[2:3]
	v_subrev_u32_e32 v31, s9, v5
	s_waitcnt vmcnt(0)
	v_subrev_u32_e32 v32, s10, v10
	v_lshlrev_b32_e32 v40, 2, v1
	s_cselect_b32 s33, 8, 24
	s_cselect_b32 s40, 16, 48
	;; [unrolled: 1-line block ×6, first 2 shown]
	s_mov_b32 s5, s28
	s_mov_b32 s21, s30
	s_mov_b64 s[10:11], 0
	v_pk_mov_b32 v[10:11], s[0:1], s[0:1] op_sel:[0,1]
	v_pk_mov_b32 v[12:13], s[12:13], s[12:13] op_sel:[0,1]
	v_mov_b32_e32 v14, v9
	v_mov_b32_e32 v15, v9
	v_cmp_ne_u32_e64 s[0:1], 1, v0
	v_mov_b32_e32 v42, 1
	s_branch .LBB18_13
.LBB18_12:                              ;   in Loop: Header=BB18_13 Depth=1
	s_or_b64 exec, exec, s[12:13]
	ds_bpermute_b32 v0, v36, v43
	s_bcnt1_i32_b64 s2, vcc
	v_add_u32_e32 v32, s2, v32
	s_waitcnt lgkmcnt(0)
	v_min_i32_e32 v0, v0, v43
	ds_bpermute_b32 v1, v37, v0
	s_waitcnt lgkmcnt(0)
	v_min_i32_e32 v0, v1, v0
	ds_bpermute_b32 v1, v38, v0
	s_waitcnt lgkmcnt(0)
	v_min_i32_e32 v0, v1, v0
	ds_bpermute_b32 v1, v39, v0
	s_waitcnt lgkmcnt(0)
	v_min_i32_e32 v0, v1, v0
	ds_bpermute_b32 v1, v40, v0
	s_waitcnt lgkmcnt(0)
	v_min_i32_e32 v44, v1, v0
	v_cmp_le_i32_e32 vcc, s14, v44
	s_or_b64 s[10:11], vcc, s[10:11]
	s_andn2_b64 exec, exec, s[10:11]
	s_cbranch_execz .LBB18_41
.LBB18_13:                              ; =>This Loop Header: Depth=1
                                        ;     Child Loop BB18_16 Depth 2
                                        ;     Child Loop BB18_29 Depth 2
	v_cmp_lt_i32_e32 vcc, v4, v30
	v_mov_b32_e32 v43, s14
	ds_write_b8 v41, v9
	ds_write2_b64 v33, v[10:11], v[12:13] offset1:1
	ds_write2_b64 v33, v[10:11], v[12:13] offset0:2 offset1:3
	ds_write2_b64 v33, v[10:11], v[12:13] offset0:4 offset1:5
	;; [unrolled: 1-line block ×3, first 2 shown]
	ds_write_b64 v33, v[14:15] offset:64
	s_waitcnt lgkmcnt(0)
	s_and_saveexec_b64 s[12:13], vcc
	s_cbranch_execz .LBB18_26
; %bb.14:                               ;   in Loop: Header=BB18_13 Depth=1
	v_mad_u64_u32 v[0:1], s[2:3], v4, 9, 8
	s_mov_b64 s[34:35], 0
	v_mov_b32_e32 v43, s14
	s_branch .LBB18_16
.LBB18_15:                              ;   in Loop: Header=BB18_16 Depth=2
	s_or_b64 exec, exec, s[38:39]
	s_and_b64 s[2:3], exec, s[36:37]
	s_or_b64 s[34:35], s[2:3], s[34:35]
	s_andn2_b64 exec, exec, s[34:35]
	s_cbranch_execz .LBB18_25
.LBB18_16:                              ;   Parent Loop BB18_13 Depth=1
                                        ; =>  This Inner Loop Header: Depth=2
	v_ashrrev_i32_e32 v5, 31, v4
	v_lshlrev_b64 v[2:3], 2, v[4:5]
	v_mov_b32_e32 v1, s19
	v_add_co_u32_e32 v2, vcc, s18, v2
	v_addc_co_u32_e32 v3, vcc, v1, v3, vcc
	global_load_dword v1, v[2:3], off
	s_waitcnt vmcnt(0)
	v_subrev_u32_e32 v2, s8, v1
	v_sub_u32_e32 v1, v2, v44
	v_cmp_gt_u32_e64 s[2:3], 32, v1
	v_cmp_lt_u32_e32 vcc, 31, v1
	s_and_saveexec_b64 s[36:37], vcc
	s_xor_b64 s[36:37], exec, s[36:37]
; %bb.17:                               ;   in Loop: Header=BB18_16 Depth=2
	v_min_i32_e32 v43, v2, v43
                                        ; implicit-def: $vgpr1
; %bb.18:                               ;   in Loop: Header=BB18_16 Depth=2
	s_andn2_saveexec_b64 s[36:37], s[36:37]
	s_cbranch_execz .LBB18_23
; %bb.19:                               ;   in Loop: Header=BB18_16 Depth=2
	v_add_u32_e32 v8, -8, v0
	v_lshlrev_b64 v[2:3], 3, v[8:9]
	v_mov_b32_e32 v5, s7
	v_add_co_u32_e32 v2, vcc, s6, v2
	v_addc_co_u32_e32 v3, vcc, v5, v3, vcc
	global_load_dwordx2 v[18:19], v[2:3], off
	v_add_u32_e32 v3, v28, v1
	v_mul_lo_u32 v1, v1, s15
	v_add_u32_e32 v5, v29, v1
	s_and_b64 vcc, exec, s[0:1]
	v_add_u32_e32 v16, -2, v0
	v_add_u32_e32 v24, -7, v0
	;; [unrolled: 1-line block ×6, first 2 shown]
	ds_write_b8 v3, v42
	s_waitcnt vmcnt(0)
	v_pk_mul_f32 v[26:27], v[18:19], s[4:5] op_sel:[1,0]
	v_pk_fma_f32 v[18:19], s[28:29], v[18:19], v[26:27] op_sel_hi:[1,0,1]
	ds_write_b64 v5, v[18:19]
	v_add_u32_e32 v18, -3, v0
	s_cbranch_vccnz .LBB18_21
; %bb.20:                               ;   in Loop: Header=BB18_16 Depth=2
	v_lshlrev_b64 v[26:27], 3, v[8:9]
	v_mov_b32_e32 v7, s7
	v_add_co_u32_e32 v26, vcc, s6, v26
	v_mov_b32_e32 v17, v9
	v_addc_co_u32_e32 v27, vcc, v7, v27, vcc
	v_lshlrev_b64 v[46:47], 3, v[16:17]
	v_add_co_u32_e32 v46, vcc, s6, v46
	v_mov_b32_e32 v25, v9
	v_addc_co_u32_e32 v47, vcc, v7, v47, vcc
	v_lshlrev_b64 v[48:49], 3, v[24:25]
	;; [unrolled: 4-line block ×3, first 2 shown]
	v_add_co_u32_e32 v50, vcc, s6, v50
	v_mov_b32_e32 v3, v9
	v_addc_co_u32_e32 v51, vcc, v7, v51, vcc
	global_load_dwordx2 v[52:53], v[26:27], off
	global_load_dwordx2 v[54:55], v[46:47], off
	;; [unrolled: 1-line block ×4, first 2 shown]
	v_lshlrev_b64 v[26:27], 3, v[2:3]
	v_add_co_u32_e32 v26, vcc, s6, v26
	v_mov_b32_e32 v23, v9
	v_addc_co_u32_e32 v27, vcc, v7, v27, vcc
	v_lshlrev_b64 v[46:47], 3, v[22:23]
	v_add_co_u32_e32 v46, vcc, s6, v46
	v_mov_b32_e32 v19, v9
	v_addc_co_u32_e32 v47, vcc, v7, v47, vcc
	;; [unrolled: 4-line block ×3, first 2 shown]
	v_lshlrev_b64 v[50:51], 3, v[0:1]
	v_add_co_u32_e32 v50, vcc, s6, v50
	v_addc_co_u32_e32 v51, vcc, v7, v51, vcc
	global_load_dwordx2 v[60:61], v[26:27], off
	global_load_dwordx2 v[62:63], v[46:47], off
	;; [unrolled: 1-line block ×4, first 2 shown]
	s_waitcnt vmcnt(7)
	v_pk_mul_f32 v[26:27], v[52:53], s[4:5] op_sel:[1,0]
	s_waitcnt vmcnt(6)
	v_pk_mul_f32 v[46:47], v[54:55], s[4:5] op_sel:[1,0]
	v_pk_fma_f32 v[26:27], s[28:29], v[52:53], v[26:27] op_sel_hi:[1,0,1]
	s_waitcnt vmcnt(5)
	v_pk_mul_f32 v[48:49], v[56:57], s[4:5] op_sel:[1,0]
	s_waitcnt vmcnt(4)
	v_pk_mul_f32 v[50:51], v[58:59], s[4:5] op_sel:[1,0]
	v_pk_fma_f32 v[46:47], s[28:29], v[54:55], v[46:47] op_sel_hi:[1,0,1]
	v_pk_fma_f32 v[48:49], s[28:29], v[56:57], v[48:49] op_sel_hi:[1,0,1]
	;; [unrolled: 1-line block ×3, first 2 shown]
	s_waitcnt vmcnt(3)
	v_pk_mul_f32 v[52:53], v[60:61], s[4:5] op_sel:[1,0]
	s_waitcnt vmcnt(2)
	v_pk_mul_f32 v[68:69], v[62:63], s[4:5] op_sel:[1,0]
	;; [unrolled: 2-line block ×4, first 2 shown]
	v_pk_fma_f32 v[52:53], s[28:29], v[60:61], v[52:53] op_sel_hi:[1,0,1]
	v_pk_fma_f32 v[54:55], s[28:29], v[62:63], v[68:69] op_sel_hi:[1,0,1]
	;; [unrolled: 1-line block ×4, first 2 shown]
	ds_write2_b64 v5, v[26:27], v[46:47] offset0:1 offset1:2
	ds_write2_b64 v5, v[48:49], v[50:51] offset0:3 offset1:4
	;; [unrolled: 1-line block ×4, first 2 shown]
	s_cbranch_execz .LBB18_22
	s_branch .LBB18_23
.LBB18_21:                              ;   in Loop: Header=BB18_16 Depth=2
.LBB18_22:                              ;   in Loop: Header=BB18_16 Depth=2
	v_mov_b32_e32 v25, v9
	v_lshlrev_b64 v[24:25], 3, v[24:25]
	v_mov_b32_e32 v7, s7
	v_add_co_u32_e32 v24, vcc, s6, v24
	v_mov_b32_e32 v23, v9
	v_addc_co_u32_e32 v25, vcc, v7, v25, vcc
	v_lshlrev_b64 v[22:23], 3, v[22:23]
	v_add_co_u32_e32 v22, vcc, s6, v22
	v_addc_co_u32_e32 v23, vcc, v7, v23, vcc
	v_lshlrev_b64 v[26:27], 3, v[8:9]
	v_add_co_u32_e32 v26, vcc, s6, v26
	v_mov_b32_e32 v21, v9
	v_addc_co_u32_e32 v27, vcc, v7, v27, vcc
	v_lshlrev_b64 v[20:21], 3, v[20:21]
	v_add_co_u32_e32 v20, vcc, s6, v20
	v_mov_b32_e32 v19, v9
	;; [unrolled: 4-line block ×5, first 2 shown]
	global_load_dwordx2 v[46:47], v[24:25], off
	global_load_dwordx2 v[48:49], v[22:23], off
	;; [unrolled: 1-line block ×4, first 2 shown]
	v_addc_co_u32_e32 v3, vcc, v7, v3, vcc
	v_lshlrev_b64 v[20:21], 3, v[0:1]
	v_add_co_u32_e32 v20, vcc, s6, v20
	v_addc_co_u32_e32 v21, vcc, v7, v21, vcc
	global_load_dwordx2 v[22:23], v[18:19], off
	global_load_dwordx2 v[24:25], v[16:17], off
	global_load_dwordx2 v[26:27], v[2:3], off
	global_load_dwordx2 v[54:55], v[20:21], off
	s_waitcnt vmcnt(7)
	v_pk_mul_f32 v[2:3], v[46:47], s[4:5] op_sel:[1,0]
	s_waitcnt vmcnt(6)
	v_pk_mul_f32 v[16:17], v[48:49], s[4:5] op_sel:[1,0]
	s_waitcnt vmcnt(5)
	v_pk_mul_f32 v[18:19], v[50:51], s[4:5] op_sel:[1,0]
	s_waitcnt vmcnt(4)
	v_pk_mul_f32 v[20:21], v[52:53], s[4:5] op_sel:[1,0]
	v_pk_fma_f32 v[2:3], s[28:29], v[46:47], v[2:3] op_sel_hi:[1,0,1]
	v_pk_fma_f32 v[16:17], s[28:29], v[48:49], v[16:17] op_sel_hi:[1,0,1]
	;; [unrolled: 1-line block ×4, first 2 shown]
	s_waitcnt vmcnt(3)
	v_pk_mul_f32 v[56:57], v[22:23], s[4:5] op_sel:[1,0]
	s_waitcnt vmcnt(2)
	v_pk_mul_f32 v[58:59], v[24:25], s[4:5] op_sel:[1,0]
	;; [unrolled: 2-line block ×4, first 2 shown]
	v_pk_fma_f32 v[22:23], s[28:29], v[22:23], v[56:57] op_sel_hi:[1,0,1]
	v_pk_fma_f32 v[24:25], s[28:29], v[24:25], v[58:59] op_sel_hi:[1,0,1]
	;; [unrolled: 1-line block ×4, first 2 shown]
	ds_write2_b64 v5, v[2:3], v[16:17] offset0:1 offset1:2
	ds_write2_b64 v5, v[18:19], v[20:21] offset0:3 offset1:4
	;; [unrolled: 1-line block ×4, first 2 shown]
.LBB18_23:                              ;   in Loop: Header=BB18_16 Depth=2
	s_or_b64 exec, exec, s[36:37]
	s_mov_b64 s[36:37], -1
	s_and_saveexec_b64 s[38:39], s[2:3]
	s_cbranch_execz .LBB18_15
; %bb.24:                               ;   in Loop: Header=BB18_16 Depth=2
	v_add_u32_e32 v4, 32, v4
	v_cmp_ge_i32_e32 vcc, v4, v30
	v_add_u32_e32 v0, 0x120, v0
	s_orn2_b64 s[36:37], vcc, exec
	s_branch .LBB18_15
.LBB18_25:                              ;   in Loop: Header=BB18_13 Depth=1
	s_or_b64 exec, exec, s[34:35]
.LBB18_26:                              ;   in Loop: Header=BB18_13 Depth=1
	s_or_b64 exec, exec, s[12:13]
	v_cmp_lt_i32_e32 vcc, v6, v31
	s_waitcnt lgkmcnt(0)
	s_and_saveexec_b64 s[12:13], vcc
	s_cbranch_execz .LBB18_39
; %bb.27:                               ;   in Loop: Header=BB18_13 Depth=1
	v_mad_u64_u32 v[16:17], s[2:3], v6, 9, 8
	s_mov_b64 s[34:35], 0
	s_branch .LBB18_29
.LBB18_28:                              ;   in Loop: Header=BB18_29 Depth=2
	s_or_b64 exec, exec, s[38:39]
	s_and_b64 s[2:3], exec, s[36:37]
	s_or_b64 s[34:35], s[2:3], s[34:35]
	s_andn2_b64 exec, exec, s[34:35]
	s_cbranch_execz .LBB18_38
.LBB18_29:                              ;   Parent Loop BB18_13 Depth=1
                                        ; =>  This Inner Loop Header: Depth=2
	v_ashrrev_i32_e32 v7, 31, v6
	v_lshlrev_b64 v[0:1], 2, v[6:7]
	v_mov_b32_e32 v2, s23
	v_add_co_u32_e32 v0, vcc, s22, v0
	v_addc_co_u32_e32 v1, vcc, v2, v1, vcc
	global_load_dword v0, v[0:1], off
	s_waitcnt vmcnt(0)
	v_subrev_u32_e32 v1, s9, v0
	v_sub_u32_e32 v0, v1, v44
	v_cmp_gt_u32_e64 s[2:3], 32, v0
	v_cmp_lt_u32_e32 vcc, 31, v0
	s_and_saveexec_b64 s[36:37], vcc
	s_xor_b64 s[36:37], exec, s[36:37]
; %bb.30:                               ;   in Loop: Header=BB18_29 Depth=2
	v_min_i32_e32 v43, v1, v43
                                        ; implicit-def: $vgpr0
; %bb.31:                               ;   in Loop: Header=BB18_29 Depth=2
	s_andn2_saveexec_b64 s[36:37], s[36:37]
	s_cbranch_execz .LBB18_36
; %bb.32:                               ;   in Loop: Header=BB18_29 Depth=2
	v_add_u32_e32 v8, -8, v16
	v_lshlrev_b64 v[2:3], 3, v[8:9]
	v_mov_b32_e32 v1, s17
	v_add_co_u32_e32 v2, vcc, s16, v2
	v_addc_co_u32_e32 v3, vcc, v1, v3, vcc
	global_load_dwordx2 v[46:47], v[2:3], off
	v_add_u32_e32 v7, v28, v0
	v_mul_lo_u32 v0, v0, s15
	v_add_u32_e32 v5, v29, v0
	ds_read2_b64 v[0:3], v5 offset1:1
	s_and_b64 vcc, exec, s[0:1]
	v_add_u32_e32 v20, -2, v16
	v_add_u32_e32 v26, -7, v16
	;; [unrolled: 1-line block ×6, first 2 shown]
	ds_write_b8 v7, v42
	s_waitcnt vmcnt(0) lgkmcnt(1)
	v_pk_fma_f32 v[0:1], s[30:31], v[46:47], v[0:1] op_sel_hi:[1,0,1]
	v_pk_fma_f32 v[0:1], s[20:21], v[46:47], v[0:1] op_sel:[0,1,0]
	ds_write_b64 v5, v[0:1]
	v_add_u32_e32 v0, -3, v16
	s_cbranch_vccnz .LBB18_34
; %bb.33:                               ;   in Loop: Header=BB18_29 Depth=2
	v_lshlrev_b64 v[46:47], 3, v[8:9]
	v_mov_b32_e32 v7, s17
	v_add_co_u32_e32 v46, vcc, s16, v46
	v_mov_b32_e32 v21, v9
	v_addc_co_u32_e32 v47, vcc, v7, v47, vcc
	v_lshlrev_b64 v[48:49], 3, v[20:21]
	v_add_co_u32_e32 v48, vcc, s16, v48
	v_mov_b32_e32 v27, v9
	v_addc_co_u32_e32 v49, vcc, v7, v49, vcc
	v_lshlrev_b64 v[50:51], 3, v[26:27]
	;; [unrolled: 4-line block ×3, first 2 shown]
	v_add_co_u32_e32 v52, vcc, s16, v52
	v_mov_b32_e32 v19, v9
	v_addc_co_u32_e32 v53, vcc, v7, v53, vcc
	global_load_dwordx2 v[58:59], v[46:47], off
	global_load_dwordx2 v[60:61], v[48:49], off
	;; [unrolled: 1-line block ×4, first 2 shown]
	v_lshlrev_b64 v[46:47], 3, v[18:19]
	v_add_co_u32_e32 v46, vcc, s16, v46
	v_mov_b32_e32 v25, v9
	v_addc_co_u32_e32 v47, vcc, v7, v47, vcc
	v_lshlrev_b64 v[48:49], 3, v[24:25]
	v_add_co_u32_e32 v48, vcc, s16, v48
	v_mov_b32_e32 v1, v9
	v_addc_co_u32_e32 v49, vcc, v7, v49, vcc
	;; [unrolled: 4-line block ×3, first 2 shown]
	v_lshlrev_b64 v[52:53], 3, v[16:17]
	v_add_co_u32_e32 v52, vcc, s16, v52
	v_addc_co_u32_e32 v53, vcc, v7, v53, vcc
	global_load_dwordx2 v[66:67], v[46:47], off
	global_load_dwordx2 v[68:69], v[48:49], off
	;; [unrolled: 1-line block ×4, first 2 shown]
	ds_read2_b64 v[46:49], v5 offset0:2 offset1:3
	ds_read2_b64 v[50:53], v5 offset0:4 offset1:5
	;; [unrolled: 1-line block ×3, first 2 shown]
	ds_read_b64 v[74:75], v5 offset:64
	s_waitcnt vmcnt(7)
	v_pk_fma_f32 v[76:77], s[30:31], v[58:59], v[2:3] op_sel_hi:[1,0,1]
	s_waitcnt vmcnt(6) lgkmcnt(3)
	v_pk_fma_f32 v[46:47], s[30:31], v[60:61], v[46:47] op_sel_hi:[1,0,1]
	v_pk_fma_f32 v[58:59], s[20:21], v[58:59], v[76:77] op_sel:[0,1,0]
	s_waitcnt vmcnt(5)
	v_pk_fma_f32 v[48:49], s[30:31], v[62:63], v[48:49] op_sel_hi:[1,0,1]
	s_waitcnt vmcnt(4) lgkmcnt(2)
	v_pk_fma_f32 v[50:51], s[30:31], v[64:65], v[50:51] op_sel_hi:[1,0,1]
	v_pk_fma_f32 v[46:47], s[20:21], v[60:61], v[46:47] op_sel:[0,1,0]
	v_pk_fma_f32 v[48:49], s[20:21], v[62:63], v[48:49] op_sel:[0,1,0]
	;; [unrolled: 1-line block ×3, first 2 shown]
	s_waitcnt vmcnt(3)
	v_pk_fma_f32 v[52:53], s[30:31], v[66:67], v[52:53] op_sel_hi:[1,0,1]
	s_waitcnt vmcnt(2) lgkmcnt(1)
	v_pk_fma_f32 v[54:55], s[30:31], v[68:69], v[54:55] op_sel_hi:[1,0,1]
	s_waitcnt vmcnt(1)
	v_pk_fma_f32 v[56:57], s[30:31], v[70:71], v[56:57] op_sel_hi:[1,0,1]
	s_waitcnt vmcnt(0) lgkmcnt(0)
	v_pk_fma_f32 v[74:75], s[30:31], v[72:73], v[74:75] op_sel_hi:[1,0,1]
	v_pk_fma_f32 v[52:53], s[20:21], v[66:67], v[52:53] op_sel:[0,1,0]
	v_pk_fma_f32 v[54:55], s[20:21], v[68:69], v[54:55] op_sel:[0,1,0]
	;; [unrolled: 1-line block ×4, first 2 shown]
	ds_write2_b64 v5, v[58:59], v[46:47] offset0:1 offset1:2
	ds_write2_b64 v5, v[48:49], v[50:51] offset0:3 offset1:4
	;; [unrolled: 1-line block ×4, first 2 shown]
	s_cbranch_execz .LBB18_35
	s_branch .LBB18_36
.LBB18_34:                              ;   in Loop: Header=BB18_29 Depth=2
.LBB18_35:                              ;   in Loop: Header=BB18_29 Depth=2
	v_mov_b32_e32 v27, v9
	v_lshlrev_b64 v[26:27], 3, v[26:27]
	v_mov_b32_e32 v7, s17
	v_add_co_u32_e32 v26, vcc, s16, v26
	v_mov_b32_e32 v25, v9
	v_addc_co_u32_e32 v27, vcc, v7, v27, vcc
	v_lshlrev_b64 v[24:25], 3, v[24:25]
	v_add_co_u32_e32 v24, vcc, s16, v24
	v_addc_co_u32_e32 v25, vcc, v7, v25, vcc
	v_lshlrev_b64 v[46:47], 3, v[8:9]
	v_add_co_u32_e32 v46, vcc, s16, v46
	v_mov_b32_e32 v23, v9
	v_addc_co_u32_e32 v47, vcc, v7, v47, vcc
	v_lshlrev_b64 v[22:23], 3, v[22:23]
	v_add_co_u32_e32 v22, vcc, s16, v22
	v_mov_b32_e32 v1, v9
	;; [unrolled: 4-line block ×5, first 2 shown]
	global_load_dwordx2 v[50:51], v[26:27], off
	global_load_dwordx2 v[52:53], v[24:25], off
	;; [unrolled: 1-line block ×4, first 2 shown]
	v_addc_co_u32_e32 v19, vcc, v7, v19, vcc
	v_lshlrev_b64 v[22:23], 3, v[16:17]
	v_add_co_u32_e32 v22, vcc, s16, v22
	v_addc_co_u32_e32 v23, vcc, v7, v23, vcc
	global_load_dwordx2 v[26:27], v[0:1], off
	global_load_dwordx2 v[58:59], v[20:21], off
	;; [unrolled: 1-line block ×4, first 2 shown]
	ds_read2_b64 v[18:21], v5 offset0:2 offset1:3
	ds_read2_b64 v[22:25], v5 offset0:4 offset1:5
	;; [unrolled: 1-line block ×3, first 2 shown]
	ds_read_b64 v[0:1], v5 offset:64
	s_waitcnt vmcnt(7)
	v_pk_fma_f32 v[2:3], s[30:31], v[50:51], v[2:3] op_sel_hi:[1,0,1]
	s_waitcnt vmcnt(6) lgkmcnt(3)
	v_pk_fma_f32 v[18:19], s[30:31], v[52:53], v[18:19] op_sel_hi:[1,0,1]
	s_waitcnt vmcnt(5)
	v_pk_fma_f32 v[20:21], s[30:31], v[54:55], v[20:21] op_sel_hi:[1,0,1]
	s_waitcnt vmcnt(4) lgkmcnt(2)
	v_pk_fma_f32 v[22:23], s[30:31], v[56:57], v[22:23] op_sel_hi:[1,0,1]
	v_pk_fma_f32 v[2:3], s[20:21], v[50:51], v[2:3] op_sel:[0,1,0]
	v_pk_fma_f32 v[18:19], s[20:21], v[52:53], v[18:19] op_sel:[0,1,0]
	;; [unrolled: 1-line block ×4, first 2 shown]
	s_waitcnt vmcnt(3)
	v_pk_fma_f32 v[24:25], s[30:31], v[26:27], v[24:25] op_sel_hi:[1,0,1]
	s_waitcnt vmcnt(2) lgkmcnt(1)
	v_pk_fma_f32 v[46:47], s[30:31], v[58:59], v[46:47] op_sel_hi:[1,0,1]
	s_waitcnt vmcnt(1)
	v_pk_fma_f32 v[48:49], s[30:31], v[60:61], v[48:49] op_sel_hi:[1,0,1]
	s_waitcnt vmcnt(0) lgkmcnt(0)
	v_pk_fma_f32 v[0:1], s[30:31], v[62:63], v[0:1] op_sel_hi:[1,0,1]
	v_pk_fma_f32 v[24:25], s[20:21], v[26:27], v[24:25] op_sel:[0,1,0]
	v_pk_fma_f32 v[26:27], s[20:21], v[58:59], v[46:47] op_sel:[0,1,0]
	;; [unrolled: 1-line block ×4, first 2 shown]
	ds_write2_b64 v5, v[2:3], v[18:19] offset0:1 offset1:2
	ds_write2_b64 v5, v[20:21], v[22:23] offset0:3 offset1:4
	;; [unrolled: 1-line block ×4, first 2 shown]
.LBB18_36:                              ;   in Loop: Header=BB18_29 Depth=2
	s_or_b64 exec, exec, s[36:37]
	s_mov_b64 s[36:37], -1
	s_and_saveexec_b64 s[38:39], s[2:3]
	s_cbranch_execz .LBB18_28
; %bb.37:                               ;   in Loop: Header=BB18_29 Depth=2
	v_add_u32_e32 v6, 32, v6
	v_cmp_ge_i32_e32 vcc, v6, v31
	v_add_u32_e32 v16, 0x120, v16
	s_orn2_b64 s[36:37], vcc, exec
	s_branch .LBB18_28
.LBB18_38:                              ;   in Loop: Header=BB18_13 Depth=1
	s_or_b64 exec, exec, s[34:35]
.LBB18_39:                              ;   in Loop: Header=BB18_13 Depth=1
	s_or_b64 exec, exec, s[12:13]
	s_waitcnt lgkmcnt(0)
	ds_read_u8 v0, v41
	s_waitcnt lgkmcnt(0)
	v_and_b32_e32 v1, 1, v0
	v_cmp_eq_u32_e64 s[2:3], 1, v1
	v_cmp_ne_u16_e32 vcc, 0, v0
	s_and_saveexec_b64 s[12:13], s[2:3]
	s_cbranch_execz .LBB18_12
; %bb.40:                               ;   in Loop: Header=BB18_13 Depth=1
	v_and_b32_e32 v0, vcc_lo, v34
	v_bcnt_u32_b32 v0, v0, 0
	v_add3_u32 v0, v32, v0, -1
	v_ashrrev_i32_e32 v1, 31, v0
	v_lshlrev_b64 v[2:3], 2, v[0:1]
	v_mov_b32_e32 v1, s25
	v_add_co_u32_e64 v2, s[2:3], s24, v2
	v_add_u32_e32 v5, v35, v44
	v_addc_co_u32_e64 v3, s[2:3], v1, v3, s[2:3]
	global_store_dword v[2:3], v5, off
	v_lshl_add_u32 v8, v0, 3, v0
	ds_read2_b64 v[0:3], v33 offset1:4
	v_lshlrev_b64 v[16:17], 3, v[8:9]
	v_mov_b32_e32 v5, s27
	v_add_co_u32_e64 v16, s[2:3], s26, v16
	v_addc_co_u32_e64 v17, s[2:3], v5, v17, s[2:3]
	s_waitcnt lgkmcnt(0)
	global_store_dwordx2 v[16:17], v[0:1], off
	v_add_u32_e32 v0, 1, v8
	v_mov_b32_e32 v1, v9
	v_lshlrev_b64 v[0:1], 3, v[0:1]
	v_add_co_u32_e64 v0, s[2:3], s26, v0
	v_add_u32_e32 v16, 2, v8
	v_mov_b32_e32 v17, v9
	v_addc_co_u32_e64 v1, s[2:3], v5, v1, s[2:3]
	v_lshlrev_b64 v[16:17], 3, v[16:17]
	v_add_co_u32_e64 v16, s[2:3], s26, v16
	v_add_u32_e32 v18, 3, v8
	v_mov_b32_e32 v19, v9
	v_addc_co_u32_e64 v17, s[2:3], v5, v17, s[2:3]
	;; [unrolled: 5-line block ×6, first 2 shown]
	v_lshlrev_b64 v[26:27], 3, v[26:27]
	v_add_co_u32_e64 v26, s[2:3], s26, v26
	v_add_u32_e32 v8, 8, v8
	v_addc_co_u32_e64 v27, s[2:3], v5, v27, s[2:3]
	v_lshlrev_b64 v[44:45], 3, v[8:9]
	v_add_co_u32_e64 v44, s[2:3], s26, v44
	v_addc_co_u32_e64 v45, s[2:3], v5, v45, s[2:3]
	v_add_u32_e32 v5, s33, v33
	v_add_u32_e32 v7, s40, v33
	ds_read_b64 v[46:47], v5
	ds_read_b64 v[48:49], v7
	v_add_u32_e32 v5, s41, v33
	ds_read_b64 v[50:51], v5
	ds_read_b64 v[52:53], v33 offset:64
	s_waitcnt lgkmcnt(3)
	global_store_dwordx2 v[0:1], v[46:47], off
	s_waitcnt lgkmcnt(2)
	global_store_dwordx2 v[16:17], v[48:49], off
	v_add_u32_e32 v0, s42, v33
	v_add_u32_e32 v5, s43, v33
	v_add_u32_e32 v7, s44, v33
	ds_read_b64 v[0:1], v0
	ds_read_b64 v[16:17], v5
	;; [unrolled: 1-line block ×3, first 2 shown]
	s_waitcnt lgkmcnt(4)
	global_store_dwordx2 v[18:19], v[50:51], off
	global_store_dwordx2 v[20:21], v[2:3], off
	s_waitcnt lgkmcnt(2)
	global_store_dwordx2 v[22:23], v[0:1], off
	s_waitcnt lgkmcnt(1)
	;; [unrolled: 2-line block ×3, first 2 shown]
	global_store_dwordx2 v[26:27], v[46:47], off
	global_store_dwordx2 v[44:45], v[52:53], off
	s_branch .LBB18_12
.LBB18_41:
	s_endpgm
.LBB18_42:
	s_load_dword s29, s[12:13], 0x4
	s_and_b64 vcc, exec, s[0:1]
	s_mov_b32 s30, s2
	s_cbranch_vccnz .LBB18_4
.LBB18_43:
	s_load_dword s30, s[2:3], 0x0
	s_and_b64 vcc, exec, s[0:1]
	s_mov_b32 s31, s3
	s_cbranch_vccz .LBB18_5
	s_branch .LBB18_6
	.section	.rodata,"a",@progbits
	.p2align	6, 0x0
	.amdhsa_kernel _ZN9rocsparseL39bsrgeam_wf_per_row_multipass_2_3_kernelILj256ELj3ELj32E21rocsparse_complex_numIfEEEv20rocsparse_direction_iiiNS_24const_host_device_scalarIT2_EEPKiS8_PKS5_S6_S8_S8_SA_S8_PiPS5_21rocsparse_index_base_SD_SD_b
		.amdhsa_group_segment_fixed_size 18688
		.amdhsa_private_segment_fixed_size 0
		.amdhsa_kernarg_size 120
		.amdhsa_user_sgpr_count 6
		.amdhsa_user_sgpr_private_segment_buffer 1
		.amdhsa_user_sgpr_dispatch_ptr 0
		.amdhsa_user_sgpr_queue_ptr 0
		.amdhsa_user_sgpr_kernarg_segment_ptr 1
		.amdhsa_user_sgpr_dispatch_id 0
		.amdhsa_user_sgpr_flat_scratch_init 0
		.amdhsa_user_sgpr_kernarg_preload_length 0
		.amdhsa_user_sgpr_kernarg_preload_offset 0
		.amdhsa_user_sgpr_private_segment_size 0
		.amdhsa_uses_dynamic_stack 0
		.amdhsa_system_sgpr_private_segment_wavefront_offset 0
		.amdhsa_system_sgpr_workgroup_id_x 1
		.amdhsa_system_sgpr_workgroup_id_y 0
		.amdhsa_system_sgpr_workgroup_id_z 0
		.amdhsa_system_sgpr_workgroup_info 0
		.amdhsa_system_vgpr_workitem_id 0
		.amdhsa_next_free_vgpr 78
		.amdhsa_next_free_sgpr 45
		.amdhsa_accum_offset 80
		.amdhsa_reserve_vcc 1
		.amdhsa_reserve_flat_scratch 0
		.amdhsa_float_round_mode_32 0
		.amdhsa_float_round_mode_16_64 0
		.amdhsa_float_denorm_mode_32 3
		.amdhsa_float_denorm_mode_16_64 3
		.amdhsa_dx10_clamp 1
		.amdhsa_ieee_mode 1
		.amdhsa_fp16_overflow 0
		.amdhsa_tg_split 0
		.amdhsa_exception_fp_ieee_invalid_op 0
		.amdhsa_exception_fp_denorm_src 0
		.amdhsa_exception_fp_ieee_div_zero 0
		.amdhsa_exception_fp_ieee_overflow 0
		.amdhsa_exception_fp_ieee_underflow 0
		.amdhsa_exception_fp_ieee_inexact 0
		.amdhsa_exception_int_div_zero 0
	.end_amdhsa_kernel
	.section	.text._ZN9rocsparseL39bsrgeam_wf_per_row_multipass_2_3_kernelILj256ELj3ELj32E21rocsparse_complex_numIfEEEv20rocsparse_direction_iiiNS_24const_host_device_scalarIT2_EEPKiS8_PKS5_S6_S8_S8_SA_S8_PiPS5_21rocsparse_index_base_SD_SD_b,"axG",@progbits,_ZN9rocsparseL39bsrgeam_wf_per_row_multipass_2_3_kernelILj256ELj3ELj32E21rocsparse_complex_numIfEEEv20rocsparse_direction_iiiNS_24const_host_device_scalarIT2_EEPKiS8_PKS5_S6_S8_S8_SA_S8_PiPS5_21rocsparse_index_base_SD_SD_b,comdat
.Lfunc_end18:
	.size	_ZN9rocsparseL39bsrgeam_wf_per_row_multipass_2_3_kernelILj256ELj3ELj32E21rocsparse_complex_numIfEEEv20rocsparse_direction_iiiNS_24const_host_device_scalarIT2_EEPKiS8_PKS5_S6_S8_S8_SA_S8_PiPS5_21rocsparse_index_base_SD_SD_b, .Lfunc_end18-_ZN9rocsparseL39bsrgeam_wf_per_row_multipass_2_3_kernelILj256ELj3ELj32E21rocsparse_complex_numIfEEEv20rocsparse_direction_iiiNS_24const_host_device_scalarIT2_EEPKiS8_PKS5_S6_S8_S8_SA_S8_PiPS5_21rocsparse_index_base_SD_SD_b
                                        ; -- End function
	.section	.AMDGPU.csdata,"",@progbits
; Kernel info:
; codeLenInByte = 3848
; NumSgprs: 49
; NumVgprs: 78
; NumAgprs: 0
; TotalNumVgprs: 78
; ScratchSize: 0
; MemoryBound: 0
; FloatMode: 240
; IeeeMode: 1
; LDSByteSize: 18688 bytes/workgroup (compile time only)
; SGPRBlocks: 6
; VGPRBlocks: 9
; NumSGPRsForWavesPerEU: 49
; NumVGPRsForWavesPerEU: 78
; AccumOffset: 80
; Occupancy: 3
; WaveLimiterHint : 1
; COMPUTE_PGM_RSRC2:SCRATCH_EN: 0
; COMPUTE_PGM_RSRC2:USER_SGPR: 6
; COMPUTE_PGM_RSRC2:TRAP_HANDLER: 0
; COMPUTE_PGM_RSRC2:TGID_X_EN: 1
; COMPUTE_PGM_RSRC2:TGID_Y_EN: 0
; COMPUTE_PGM_RSRC2:TGID_Z_EN: 0
; COMPUTE_PGM_RSRC2:TIDIG_COMP_CNT: 0
; COMPUTE_PGM_RSRC3_GFX90A:ACCUM_OFFSET: 19
; COMPUTE_PGM_RSRC3_GFX90A:TG_SPLIT: 0
	.section	.text._ZN9rocsparseL39bsrgeam_wf_per_row_multipass_2_3_kernelILj256ELj3ELj64E21rocsparse_complex_numIfEEEv20rocsparse_direction_iiiNS_24const_host_device_scalarIT2_EEPKiS8_PKS5_S6_S8_S8_SA_S8_PiPS5_21rocsparse_index_base_SD_SD_b,"axG",@progbits,_ZN9rocsparseL39bsrgeam_wf_per_row_multipass_2_3_kernelILj256ELj3ELj64E21rocsparse_complex_numIfEEEv20rocsparse_direction_iiiNS_24const_host_device_scalarIT2_EEPKiS8_PKS5_S6_S8_S8_SA_S8_PiPS5_21rocsparse_index_base_SD_SD_b,comdat
	.globl	_ZN9rocsparseL39bsrgeam_wf_per_row_multipass_2_3_kernelILj256ELj3ELj64E21rocsparse_complex_numIfEEEv20rocsparse_direction_iiiNS_24const_host_device_scalarIT2_EEPKiS8_PKS5_S6_S8_S8_SA_S8_PiPS5_21rocsparse_index_base_SD_SD_b ; -- Begin function _ZN9rocsparseL39bsrgeam_wf_per_row_multipass_2_3_kernelILj256ELj3ELj64E21rocsparse_complex_numIfEEEv20rocsparse_direction_iiiNS_24const_host_device_scalarIT2_EEPKiS8_PKS5_S6_S8_S8_SA_S8_PiPS5_21rocsparse_index_base_SD_SD_b
	.p2align	8
	.type	_ZN9rocsparseL39bsrgeam_wf_per_row_multipass_2_3_kernelILj256ELj3ELj64E21rocsparse_complex_numIfEEEv20rocsparse_direction_iiiNS_24const_host_device_scalarIT2_EEPKiS8_PKS5_S6_S8_S8_SA_S8_PiPS5_21rocsparse_index_base_SD_SD_b,@function
_ZN9rocsparseL39bsrgeam_wf_per_row_multipass_2_3_kernelILj256ELj3ELj64E21rocsparse_complex_numIfEEEv20rocsparse_direction_iiiNS_24const_host_device_scalarIT2_EEPKiS8_PKS5_S6_S8_S8_SA_S8_PiPS5_21rocsparse_index_base_SD_SD_b: ; @_ZN9rocsparseL39bsrgeam_wf_per_row_multipass_2_3_kernelILj256ELj3ELj64E21rocsparse_complex_numIfEEEv20rocsparse_direction_iiiNS_24const_host_device_scalarIT2_EEPKiS8_PKS5_S6_S8_S8_SA_S8_PiPS5_21rocsparse_index_base_SD_SD_b
; %bb.0:
	s_load_dwordx4 s[8:11], s[4:5], 0x68
	s_load_dwordx2 s[12:13], s[4:5], 0x10
	s_load_dwordx2 s[2:3], s[4:5], 0x30
	s_waitcnt lgkmcnt(0)
	s_bitcmp1_b32 s11, 0
	s_cselect_b64 s[0:1], -1, 0
	s_xor_b64 s[14:15], s[0:1], -1
	s_and_b64 vcc, exec, s[0:1]
	s_mov_b32 s28, s12
	s_cbranch_vccnz .LBB19_2
; %bb.1:
	s_load_dword s28, s[12:13], 0x0
.LBB19_2:
	v_cndmask_b32_e64 v1, 0, 1, s[14:15]
	v_cmp_ne_u32_e64 s[0:1], 1, v1
	s_andn2_b64 vcc, exec, s[14:15]
	s_mov_b32 s29, s13
	s_cbranch_vccz .LBB19_42
; %bb.3:
	s_and_b64 vcc, exec, s[0:1]
	s_mov_b32 s30, s2
	s_cbranch_vccz .LBB19_43
.LBB19_4:
	s_and_b64 vcc, exec, s[0:1]
	s_mov_b32 s31, s3
	s_cbranch_vccnz .LBB19_6
.LBB19_5:
	s_load_dword s31, s[2:3], 0x4
.LBB19_6:
	s_load_dwordx4 s[12:15], s[4:5], 0x0
	s_lshl_b32 s0, s6, 2
	v_lshrrev_b32_e32 v1, 6, v0
	s_and_b32 s0, s0, 0x3fffffc
	v_or_b32_e32 v2, s0, v1
	s_waitcnt lgkmcnt(0)
	v_cmp_gt_i32_e32 vcc, s13, v2
	s_and_saveexec_b64 s[0:1], vcc
	s_cbranch_execz .LBB19_41
; %bb.7:
	s_load_dwordx4 s[16:19], s[4:5], 0x18
	s_load_dwordx4 s[20:23], s[4:5], 0x38
	s_load_dwordx2 s[0:1], s[4:5], 0x50
	v_lshlrev_b32_e32 v6, 2, v2
	s_waitcnt lgkmcnt(0)
	global_load_dwordx2 v[2:3], v6, s[16:17]
	global_load_dwordx2 v[4:5], v6, s[20:21]
	global_load_dword v10, v6, s[0:1]
	s_waitcnt vmcnt(2)
	v_subrev_u32_e32 v6, s8, v2
	v_cmp_lt_i32_e32 vcc, v2, v3
	v_mov_b32_e32 v2, s14
	s_and_saveexec_b64 s[0:1], vcc
	s_cbranch_execz .LBB19_9
; %bb.8:
	v_ashrrev_i32_e32 v7, 31, v6
	v_lshlrev_b64 v[8:9], 2, v[6:7]
	v_mov_b32_e32 v2, s19
	v_add_co_u32_e32 v8, vcc, s18, v8
	v_addc_co_u32_e32 v9, vcc, v2, v9, vcc
	global_load_dword v2, v[8:9], off
	s_waitcnt vmcnt(0)
	v_subrev_u32_e32 v2, s8, v2
.LBB19_9:
	s_or_b64 exec, exec, s[0:1]
	s_load_dwordx4 s[24:27], s[4:5], 0x58
	s_load_dwordx2 s[6:7], s[4:5], 0x28
	s_load_dwordx2 s[16:17], s[4:5], 0x48
	s_waitcnt vmcnt(1)
	v_subrev_u32_e32 v8, s9, v4
	v_cmp_lt_i32_e32 vcc, v4, v5
	v_mov_b32_e32 v4, s14
	s_and_saveexec_b64 s[0:1], vcc
	s_cbranch_execz .LBB19_11
; %bb.10:
	v_ashrrev_i32_e32 v9, 31, v8
	v_lshlrev_b64 v[12:13], 2, v[8:9]
	v_mov_b32_e32 v4, s23
	v_add_co_u32_e32 v12, vcc, s22, v12
	v_addc_co_u32_e32 v13, vcc, v4, v13, vcc
	global_load_dword v4, v[12:13], off
	s_waitcnt vmcnt(0)
	v_subrev_u32_e32 v4, s9, v4
.LBB19_11:
	s_or_b64 exec, exec, s[0:1]
	v_mul_u32_u24_e32 v1, 0x240, v1
	v_lshlrev_b32_e32 v31, 3, v1
	v_mbcnt_lo_u32_b32 v1, -1, 0
	v_and_b32_e32 v7, 0xc0, v0
	v_and_b32_e32 v0, 63, v0
	v_mbcnt_hi_u32_b32 v1, -1, v1
	v_subrev_u32_e32 v32, s8, v3
	v_min_i32_e32 v46, v4, v2
	v_and_b32_e32 v2, 64, v1
	v_xor_b32_e32 v3, 63, v0
	s_waitcnt vmcnt(0)
	v_subrev_u32_e32 v34, s10, v10
	v_add_u32_e32 v2, 64, v2
	v_lshrrev_b64 v[10:11], v3, -1
	v_xor_b32_e32 v3, 32, v1
	v_cmp_lt_i32_e32 vcc, v3, v2
	v_cndmask_b32_e32 v3, v1, v3, vcc
	v_lshlrev_b32_e32 v37, 2, v3
	v_xor_b32_e32 v3, 16, v1
	v_cmp_lt_i32_e32 vcc, v3, v2
	v_cndmask_b32_e32 v3, v1, v3, vcc
	v_lshlrev_b32_e32 v38, 2, v3
	;; [unrolled: 4-line block ×4, first 2 shown]
	v_xor_b32_e32 v3, 2, v1
	v_cmp_lt_i32_e32 vcc, v3, v2
	v_cndmask_b32_e32 v3, v1, v3, vcc
	s_cmp_lg_u32 s12, 0
	v_lshlrev_b32_e32 v41, 2, v3
	v_xor_b32_e32 v3, 1, v1
	v_or_b32_e32 v30, 0x4800, v7
	s_movk_i32 s15, 0x48
	s_mov_b32 s0, 0
	s_cselect_b64 s[2:3], -1, 0
	s_xor_b32 s4, s29, 0x80000000
	s_xor_b32 s20, s31, 0x80000000
	v_cmp_lt_i32_e32 vcc, v3, v2
	v_add_u32_e32 v4, v6, v0
	v_add_u32_e32 v6, v8, v0
	v_mad_u32_u24 v35, v0, s15, v31
	v_mov_b32_e32 v9, 0
	s_cmp_eq_u32 s12, 0
	v_add_u32_e32 v36, s10, v0
	v_cndmask_b32_e32 v1, v1, v3, vcc
	v_add_u32_e32 v43, v30, v0
	s_mov_b32 s1, s0
	s_mov_b32 s12, s0
	;; [unrolled: 1-line block ×3, first 2 shown]
	v_cndmask_b32_e64 v0, 0, 1, s[2:3]
	v_subrev_u32_e32 v33, s9, v5
	v_lshlrev_b32_e32 v42, 2, v1
	s_cselect_b32 s33, 8, 24
	s_cselect_b32 s40, 16, 48
	;; [unrolled: 1-line block ×6, first 2 shown]
	s_mov_b32 s5, s28
	s_mov_b32 s21, s30
	s_mov_b64 s[10:11], 0
	v_pk_mov_b32 v[12:13], s[0:1], s[0:1] op_sel:[0,1]
	v_pk_mov_b32 v[14:15], s[12:13], s[12:13] op_sel:[0,1]
	v_mov_b32_e32 v16, v9
	v_mov_b32_e32 v17, v9
	v_cmp_ne_u32_e64 s[0:1], 1, v0
	v_mov_b32_e32 v44, 1
	s_branch .LBB19_13
.LBB19_12:                              ;   in Loop: Header=BB19_13 Depth=1
	s_or_b64 exec, exec, s[12:13]
	ds_bpermute_b32 v0, v37, v45
	s_bcnt1_i32_b64 s2, vcc
	v_add_u32_e32 v34, s2, v34
	s_waitcnt lgkmcnt(0)
	v_min_i32_e32 v0, v0, v45
	ds_bpermute_b32 v1, v38, v0
	s_waitcnt lgkmcnt(0)
	v_min_i32_e32 v0, v1, v0
	ds_bpermute_b32 v1, v39, v0
	s_waitcnt lgkmcnt(0)
	v_min_i32_e32 v0, v1, v0
	ds_bpermute_b32 v1, v40, v0
	s_waitcnt lgkmcnt(0)
	v_min_i32_e32 v0, v1, v0
	ds_bpermute_b32 v1, v41, v0
	s_waitcnt lgkmcnt(0)
	v_min_i32_e32 v0, v1, v0
	ds_bpermute_b32 v1, v42, v0
	s_waitcnt lgkmcnt(0)
	v_min_i32_e32 v46, v1, v0
	v_cmp_le_i32_e32 vcc, s14, v46
	s_or_b64 s[10:11], vcc, s[10:11]
	s_andn2_b64 exec, exec, s[10:11]
	s_cbranch_execz .LBB19_41
.LBB19_13:                              ; =>This Loop Header: Depth=1
                                        ;     Child Loop BB19_16 Depth 2
                                        ;     Child Loop BB19_29 Depth 2
	v_cmp_lt_i32_e32 vcc, v4, v32
	v_mov_b32_e32 v45, s14
	ds_write_b8 v43, v9
	ds_write2_b64 v35, v[12:13], v[14:15] offset1:1
	ds_write2_b64 v35, v[12:13], v[14:15] offset0:2 offset1:3
	ds_write2_b64 v35, v[12:13], v[14:15] offset0:4 offset1:5
	ds_write2_b64 v35, v[12:13], v[14:15] offset0:6 offset1:7
	ds_write_b64 v35, v[16:17] offset:64
	s_waitcnt lgkmcnt(0)
	s_and_saveexec_b64 s[12:13], vcc
	s_cbranch_execz .LBB19_26
; %bb.14:                               ;   in Loop: Header=BB19_13 Depth=1
	v_mad_u64_u32 v[0:1], s[2:3], v4, 9, 8
	s_mov_b64 s[34:35], 0
	v_mov_b32_e32 v45, s14
	s_branch .LBB19_16
.LBB19_15:                              ;   in Loop: Header=BB19_16 Depth=2
	s_or_b64 exec, exec, s[38:39]
	s_and_b64 s[2:3], exec, s[36:37]
	s_or_b64 s[34:35], s[2:3], s[34:35]
	s_andn2_b64 exec, exec, s[34:35]
	s_cbranch_execz .LBB19_25
.LBB19_16:                              ;   Parent Loop BB19_13 Depth=1
                                        ; =>  This Inner Loop Header: Depth=2
	v_ashrrev_i32_e32 v5, 31, v4
	v_lshlrev_b64 v[2:3], 2, v[4:5]
	v_mov_b32_e32 v1, s19
	v_add_co_u32_e32 v2, vcc, s18, v2
	v_addc_co_u32_e32 v3, vcc, v1, v3, vcc
	global_load_dword v1, v[2:3], off
	s_waitcnt vmcnt(0)
	v_subrev_u32_e32 v2, s8, v1
	v_sub_u32_e32 v1, v2, v46
	v_cmp_gt_u32_e64 s[2:3], 64, v1
	v_cmp_lt_u32_e32 vcc, 63, v1
	s_and_saveexec_b64 s[36:37], vcc
	s_xor_b64 s[36:37], exec, s[36:37]
; %bb.17:                               ;   in Loop: Header=BB19_16 Depth=2
	v_min_i32_e32 v45, v2, v45
                                        ; implicit-def: $vgpr1
; %bb.18:                               ;   in Loop: Header=BB19_16 Depth=2
	s_andn2_saveexec_b64 s[36:37], s[36:37]
	s_cbranch_execz .LBB19_23
; %bb.19:                               ;   in Loop: Header=BB19_16 Depth=2
	v_add_u32_e32 v8, -8, v0
	v_lshlrev_b64 v[2:3], 3, v[8:9]
	v_mov_b32_e32 v5, s7
	v_add_co_u32_e32 v2, vcc, s6, v2
	v_addc_co_u32_e32 v3, vcc, v5, v3, vcc
	global_load_dwordx2 v[20:21], v[2:3], off
	v_add_u32_e32 v3, v30, v1
	v_mul_lo_u32 v1, v1, s15
	v_add_u32_e32 v5, v31, v1
	s_and_b64 vcc, exec, s[0:1]
	v_add_u32_e32 v18, -2, v0
	v_add_u32_e32 v26, -7, v0
	;; [unrolled: 1-line block ×6, first 2 shown]
	ds_write_b8 v3, v44
	s_waitcnt vmcnt(0)
	v_pk_mul_f32 v[28:29], v[20:21], s[4:5] op_sel:[1,0]
	v_pk_fma_f32 v[20:21], s[28:29], v[20:21], v[28:29] op_sel_hi:[1,0,1]
	ds_write_b64 v5, v[20:21]
	v_add_u32_e32 v20, -3, v0
	s_cbranch_vccnz .LBB19_21
; %bb.20:                               ;   in Loop: Header=BB19_16 Depth=2
	v_lshlrev_b64 v[28:29], 3, v[8:9]
	v_mov_b32_e32 v7, s7
	v_add_co_u32_e32 v28, vcc, s6, v28
	v_mov_b32_e32 v19, v9
	v_addc_co_u32_e32 v29, vcc, v7, v29, vcc
	v_lshlrev_b64 v[48:49], 3, v[18:19]
	v_add_co_u32_e32 v48, vcc, s6, v48
	v_mov_b32_e32 v27, v9
	v_addc_co_u32_e32 v49, vcc, v7, v49, vcc
	v_lshlrev_b64 v[50:51], 3, v[26:27]
	;; [unrolled: 4-line block ×3, first 2 shown]
	v_add_co_u32_e32 v52, vcc, s6, v52
	v_mov_b32_e32 v3, v9
	v_addc_co_u32_e32 v53, vcc, v7, v53, vcc
	global_load_dwordx2 v[54:55], v[28:29], off
	global_load_dwordx2 v[56:57], v[48:49], off
	;; [unrolled: 1-line block ×4, first 2 shown]
	v_lshlrev_b64 v[28:29], 3, v[2:3]
	v_add_co_u32_e32 v28, vcc, s6, v28
	v_mov_b32_e32 v25, v9
	v_addc_co_u32_e32 v29, vcc, v7, v29, vcc
	v_lshlrev_b64 v[48:49], 3, v[24:25]
	v_add_co_u32_e32 v48, vcc, s6, v48
	v_mov_b32_e32 v21, v9
	v_addc_co_u32_e32 v49, vcc, v7, v49, vcc
	;; [unrolled: 4-line block ×3, first 2 shown]
	v_lshlrev_b64 v[52:53], 3, v[0:1]
	v_add_co_u32_e32 v52, vcc, s6, v52
	v_addc_co_u32_e32 v53, vcc, v7, v53, vcc
	global_load_dwordx2 v[62:63], v[28:29], off
	global_load_dwordx2 v[64:65], v[48:49], off
	;; [unrolled: 1-line block ×4, first 2 shown]
	s_waitcnt vmcnt(7)
	v_pk_mul_f32 v[28:29], v[54:55], s[4:5] op_sel:[1,0]
	s_waitcnt vmcnt(6)
	v_pk_mul_f32 v[48:49], v[56:57], s[4:5] op_sel:[1,0]
	v_pk_fma_f32 v[28:29], s[28:29], v[54:55], v[28:29] op_sel_hi:[1,0,1]
	s_waitcnt vmcnt(5)
	v_pk_mul_f32 v[50:51], v[58:59], s[4:5] op_sel:[1,0]
	s_waitcnt vmcnt(4)
	v_pk_mul_f32 v[52:53], v[60:61], s[4:5] op_sel:[1,0]
	v_pk_fma_f32 v[48:49], s[28:29], v[56:57], v[48:49] op_sel_hi:[1,0,1]
	v_pk_fma_f32 v[50:51], s[28:29], v[58:59], v[50:51] op_sel_hi:[1,0,1]
	;; [unrolled: 1-line block ×3, first 2 shown]
	s_waitcnt vmcnt(3)
	v_pk_mul_f32 v[54:55], v[62:63], s[4:5] op_sel:[1,0]
	s_waitcnt vmcnt(2)
	v_pk_mul_f32 v[70:71], v[64:65], s[4:5] op_sel:[1,0]
	;; [unrolled: 2-line block ×4, first 2 shown]
	v_pk_fma_f32 v[54:55], s[28:29], v[62:63], v[54:55] op_sel_hi:[1,0,1]
	v_pk_fma_f32 v[56:57], s[28:29], v[64:65], v[70:71] op_sel_hi:[1,0,1]
	;; [unrolled: 1-line block ×4, first 2 shown]
	ds_write2_b64 v5, v[28:29], v[48:49] offset0:1 offset1:2
	ds_write2_b64 v5, v[50:51], v[52:53] offset0:3 offset1:4
	;; [unrolled: 1-line block ×4, first 2 shown]
	s_cbranch_execz .LBB19_22
	s_branch .LBB19_23
.LBB19_21:                              ;   in Loop: Header=BB19_16 Depth=2
.LBB19_22:                              ;   in Loop: Header=BB19_16 Depth=2
	v_mov_b32_e32 v27, v9
	v_lshlrev_b64 v[26:27], 3, v[26:27]
	v_mov_b32_e32 v7, s7
	v_add_co_u32_e32 v26, vcc, s6, v26
	v_mov_b32_e32 v25, v9
	v_addc_co_u32_e32 v27, vcc, v7, v27, vcc
	v_lshlrev_b64 v[24:25], 3, v[24:25]
	v_add_co_u32_e32 v24, vcc, s6, v24
	v_addc_co_u32_e32 v25, vcc, v7, v25, vcc
	v_lshlrev_b64 v[28:29], 3, v[8:9]
	v_add_co_u32_e32 v28, vcc, s6, v28
	v_mov_b32_e32 v23, v9
	v_addc_co_u32_e32 v29, vcc, v7, v29, vcc
	v_lshlrev_b64 v[22:23], 3, v[22:23]
	v_add_co_u32_e32 v22, vcc, s6, v22
	v_mov_b32_e32 v21, v9
	;; [unrolled: 4-line block ×5, first 2 shown]
	global_load_dwordx2 v[48:49], v[26:27], off
	global_load_dwordx2 v[50:51], v[24:25], off
	;; [unrolled: 1-line block ×4, first 2 shown]
	v_addc_co_u32_e32 v3, vcc, v7, v3, vcc
	v_lshlrev_b64 v[22:23], 3, v[0:1]
	v_add_co_u32_e32 v22, vcc, s6, v22
	v_addc_co_u32_e32 v23, vcc, v7, v23, vcc
	global_load_dwordx2 v[24:25], v[20:21], off
	global_load_dwordx2 v[26:27], v[18:19], off
	;; [unrolled: 1-line block ×4, first 2 shown]
	s_waitcnt vmcnt(7)
	v_pk_mul_f32 v[2:3], v[48:49], s[4:5] op_sel:[1,0]
	s_waitcnt vmcnt(6)
	v_pk_mul_f32 v[18:19], v[50:51], s[4:5] op_sel:[1,0]
	;; [unrolled: 2-line block ×4, first 2 shown]
	v_pk_fma_f32 v[2:3], s[28:29], v[48:49], v[2:3] op_sel_hi:[1,0,1]
	v_pk_fma_f32 v[18:19], s[28:29], v[50:51], v[18:19] op_sel_hi:[1,0,1]
	;; [unrolled: 1-line block ×4, first 2 shown]
	s_waitcnt vmcnt(3)
	v_pk_mul_f32 v[58:59], v[24:25], s[4:5] op_sel:[1,0]
	s_waitcnt vmcnt(2)
	v_pk_mul_f32 v[60:61], v[26:27], s[4:5] op_sel:[1,0]
	;; [unrolled: 2-line block ×4, first 2 shown]
	v_pk_fma_f32 v[24:25], s[28:29], v[24:25], v[58:59] op_sel_hi:[1,0,1]
	v_pk_fma_f32 v[26:27], s[28:29], v[26:27], v[60:61] op_sel_hi:[1,0,1]
	;; [unrolled: 1-line block ×4, first 2 shown]
	ds_write2_b64 v5, v[2:3], v[18:19] offset0:1 offset1:2
	ds_write2_b64 v5, v[20:21], v[22:23] offset0:3 offset1:4
	;; [unrolled: 1-line block ×4, first 2 shown]
.LBB19_23:                              ;   in Loop: Header=BB19_16 Depth=2
	s_or_b64 exec, exec, s[36:37]
	s_mov_b64 s[36:37], -1
	s_and_saveexec_b64 s[38:39], s[2:3]
	s_cbranch_execz .LBB19_15
; %bb.24:                               ;   in Loop: Header=BB19_16 Depth=2
	v_add_u32_e32 v4, 64, v4
	v_cmp_ge_i32_e32 vcc, v4, v32
	v_add_u32_e32 v0, 0x240, v0
	s_orn2_b64 s[36:37], vcc, exec
	s_branch .LBB19_15
.LBB19_25:                              ;   in Loop: Header=BB19_13 Depth=1
	s_or_b64 exec, exec, s[34:35]
.LBB19_26:                              ;   in Loop: Header=BB19_13 Depth=1
	s_or_b64 exec, exec, s[12:13]
	v_cmp_lt_i32_e32 vcc, v6, v33
	s_waitcnt lgkmcnt(0)
	s_and_saveexec_b64 s[12:13], vcc
	s_cbranch_execz .LBB19_39
; %bb.27:                               ;   in Loop: Header=BB19_13 Depth=1
	v_mad_u64_u32 v[18:19], s[2:3], v6, 9, 8
	s_mov_b64 s[34:35], 0
	s_branch .LBB19_29
.LBB19_28:                              ;   in Loop: Header=BB19_29 Depth=2
	s_or_b64 exec, exec, s[38:39]
	s_and_b64 s[2:3], exec, s[36:37]
	s_or_b64 s[34:35], s[2:3], s[34:35]
	s_andn2_b64 exec, exec, s[34:35]
	s_cbranch_execz .LBB19_38
.LBB19_29:                              ;   Parent Loop BB19_13 Depth=1
                                        ; =>  This Inner Loop Header: Depth=2
	v_ashrrev_i32_e32 v7, 31, v6
	v_lshlrev_b64 v[0:1], 2, v[6:7]
	v_mov_b32_e32 v2, s23
	v_add_co_u32_e32 v0, vcc, s22, v0
	v_addc_co_u32_e32 v1, vcc, v2, v1, vcc
	global_load_dword v0, v[0:1], off
	s_waitcnt vmcnt(0)
	v_subrev_u32_e32 v1, s9, v0
	v_sub_u32_e32 v0, v1, v46
	v_cmp_gt_u32_e64 s[2:3], 64, v0
	v_cmp_lt_u32_e32 vcc, 63, v0
	s_and_saveexec_b64 s[36:37], vcc
	s_xor_b64 s[36:37], exec, s[36:37]
; %bb.30:                               ;   in Loop: Header=BB19_29 Depth=2
	v_min_i32_e32 v45, v1, v45
                                        ; implicit-def: $vgpr0
; %bb.31:                               ;   in Loop: Header=BB19_29 Depth=2
	s_andn2_saveexec_b64 s[36:37], s[36:37]
	s_cbranch_execz .LBB19_36
; %bb.32:                               ;   in Loop: Header=BB19_29 Depth=2
	v_add_u32_e32 v8, -8, v18
	v_lshlrev_b64 v[2:3], 3, v[8:9]
	v_mov_b32_e32 v1, s17
	v_add_co_u32_e32 v2, vcc, s16, v2
	v_addc_co_u32_e32 v3, vcc, v1, v3, vcc
	global_load_dwordx2 v[48:49], v[2:3], off
	v_add_u32_e32 v7, v30, v0
	v_mul_lo_u32 v0, v0, s15
	v_add_u32_e32 v5, v31, v0
	ds_read2_b64 v[0:3], v5 offset1:1
	s_and_b64 vcc, exec, s[0:1]
	v_add_u32_e32 v22, -2, v18
	v_add_u32_e32 v28, -7, v18
	v_add_u32_e32 v24, -4, v18
	v_add_u32_e32 v20, -1, v18
	v_add_u32_e32 v26, -6, v18
	v_add_u32_e32 v8, -5, v18
	ds_write_b8 v7, v44
	s_waitcnt vmcnt(0) lgkmcnt(1)
	v_pk_fma_f32 v[0:1], s[30:31], v[48:49], v[0:1] op_sel_hi:[1,0,1]
	v_pk_fma_f32 v[0:1], s[20:21], v[48:49], v[0:1] op_sel:[0,1,0]
	ds_write_b64 v5, v[0:1]
	v_add_u32_e32 v0, -3, v18
	s_cbranch_vccnz .LBB19_34
; %bb.33:                               ;   in Loop: Header=BB19_29 Depth=2
	v_lshlrev_b64 v[48:49], 3, v[8:9]
	v_mov_b32_e32 v7, s17
	v_add_co_u32_e32 v48, vcc, s16, v48
	v_mov_b32_e32 v23, v9
	v_addc_co_u32_e32 v49, vcc, v7, v49, vcc
	v_lshlrev_b64 v[50:51], 3, v[22:23]
	v_add_co_u32_e32 v50, vcc, s16, v50
	v_mov_b32_e32 v29, v9
	v_addc_co_u32_e32 v51, vcc, v7, v51, vcc
	v_lshlrev_b64 v[52:53], 3, v[28:29]
	;; [unrolled: 4-line block ×3, first 2 shown]
	v_add_co_u32_e32 v54, vcc, s16, v54
	v_mov_b32_e32 v21, v9
	v_addc_co_u32_e32 v55, vcc, v7, v55, vcc
	global_load_dwordx2 v[60:61], v[48:49], off
	global_load_dwordx2 v[62:63], v[50:51], off
	;; [unrolled: 1-line block ×4, first 2 shown]
	v_lshlrev_b64 v[48:49], 3, v[20:21]
	v_add_co_u32_e32 v48, vcc, s16, v48
	v_mov_b32_e32 v27, v9
	v_addc_co_u32_e32 v49, vcc, v7, v49, vcc
	v_lshlrev_b64 v[50:51], 3, v[26:27]
	v_add_co_u32_e32 v50, vcc, s16, v50
	v_mov_b32_e32 v1, v9
	v_addc_co_u32_e32 v51, vcc, v7, v51, vcc
	;; [unrolled: 4-line block ×3, first 2 shown]
	v_lshlrev_b64 v[54:55], 3, v[18:19]
	v_add_co_u32_e32 v54, vcc, s16, v54
	v_addc_co_u32_e32 v55, vcc, v7, v55, vcc
	global_load_dwordx2 v[68:69], v[48:49], off
	global_load_dwordx2 v[70:71], v[50:51], off
	;; [unrolled: 1-line block ×4, first 2 shown]
	ds_read2_b64 v[48:51], v5 offset0:2 offset1:3
	ds_read2_b64 v[52:55], v5 offset0:4 offset1:5
	;; [unrolled: 1-line block ×3, first 2 shown]
	ds_read_b64 v[76:77], v5 offset:64
	s_waitcnt vmcnt(7)
	v_pk_fma_f32 v[78:79], s[30:31], v[60:61], v[2:3] op_sel_hi:[1,0,1]
	s_waitcnt vmcnt(6) lgkmcnt(3)
	v_pk_fma_f32 v[48:49], s[30:31], v[62:63], v[48:49] op_sel_hi:[1,0,1]
	v_pk_fma_f32 v[60:61], s[20:21], v[60:61], v[78:79] op_sel:[0,1,0]
	s_waitcnt vmcnt(5)
	v_pk_fma_f32 v[50:51], s[30:31], v[64:65], v[50:51] op_sel_hi:[1,0,1]
	s_waitcnt vmcnt(4) lgkmcnt(2)
	v_pk_fma_f32 v[52:53], s[30:31], v[66:67], v[52:53] op_sel_hi:[1,0,1]
	v_pk_fma_f32 v[48:49], s[20:21], v[62:63], v[48:49] op_sel:[0,1,0]
	v_pk_fma_f32 v[50:51], s[20:21], v[64:65], v[50:51] op_sel:[0,1,0]
	v_pk_fma_f32 v[52:53], s[20:21], v[66:67], v[52:53] op_sel:[0,1,0]
	s_waitcnt vmcnt(3)
	v_pk_fma_f32 v[54:55], s[30:31], v[68:69], v[54:55] op_sel_hi:[1,0,1]
	s_waitcnt vmcnt(2) lgkmcnt(1)
	v_pk_fma_f32 v[56:57], s[30:31], v[70:71], v[56:57] op_sel_hi:[1,0,1]
	s_waitcnt vmcnt(1)
	v_pk_fma_f32 v[58:59], s[30:31], v[72:73], v[58:59] op_sel_hi:[1,0,1]
	s_waitcnt vmcnt(0) lgkmcnt(0)
	v_pk_fma_f32 v[76:77], s[30:31], v[74:75], v[76:77] op_sel_hi:[1,0,1]
	v_pk_fma_f32 v[54:55], s[20:21], v[68:69], v[54:55] op_sel:[0,1,0]
	v_pk_fma_f32 v[56:57], s[20:21], v[70:71], v[56:57] op_sel:[0,1,0]
	;; [unrolled: 1-line block ×4, first 2 shown]
	ds_write2_b64 v5, v[60:61], v[48:49] offset0:1 offset1:2
	ds_write2_b64 v5, v[50:51], v[52:53] offset0:3 offset1:4
	;; [unrolled: 1-line block ×4, first 2 shown]
	s_cbranch_execz .LBB19_35
	s_branch .LBB19_36
.LBB19_34:                              ;   in Loop: Header=BB19_29 Depth=2
.LBB19_35:                              ;   in Loop: Header=BB19_29 Depth=2
	v_mov_b32_e32 v29, v9
	v_lshlrev_b64 v[28:29], 3, v[28:29]
	v_mov_b32_e32 v7, s17
	v_add_co_u32_e32 v28, vcc, s16, v28
	v_mov_b32_e32 v27, v9
	v_addc_co_u32_e32 v29, vcc, v7, v29, vcc
	v_lshlrev_b64 v[26:27], 3, v[26:27]
	v_add_co_u32_e32 v26, vcc, s16, v26
	v_addc_co_u32_e32 v27, vcc, v7, v27, vcc
	v_lshlrev_b64 v[48:49], 3, v[8:9]
	v_add_co_u32_e32 v48, vcc, s16, v48
	v_mov_b32_e32 v25, v9
	v_addc_co_u32_e32 v49, vcc, v7, v49, vcc
	v_lshlrev_b64 v[24:25], 3, v[24:25]
	v_add_co_u32_e32 v24, vcc, s16, v24
	v_mov_b32_e32 v1, v9
	;; [unrolled: 4-line block ×5, first 2 shown]
	global_load_dwordx2 v[52:53], v[28:29], off
	global_load_dwordx2 v[54:55], v[26:27], off
	global_load_dwordx2 v[56:57], v[48:49], off
	global_load_dwordx2 v[58:59], v[24:25], off
	v_addc_co_u32_e32 v21, vcc, v7, v21, vcc
	v_lshlrev_b64 v[24:25], 3, v[18:19]
	v_add_co_u32_e32 v24, vcc, s16, v24
	v_addc_co_u32_e32 v25, vcc, v7, v25, vcc
	global_load_dwordx2 v[28:29], v[0:1], off
	global_load_dwordx2 v[60:61], v[22:23], off
	;; [unrolled: 1-line block ×4, first 2 shown]
	ds_read2_b64 v[20:23], v5 offset0:2 offset1:3
	ds_read2_b64 v[24:27], v5 offset0:4 offset1:5
	;; [unrolled: 1-line block ×3, first 2 shown]
	ds_read_b64 v[0:1], v5 offset:64
	s_waitcnt vmcnt(7)
	v_pk_fma_f32 v[2:3], s[30:31], v[52:53], v[2:3] op_sel_hi:[1,0,1]
	s_waitcnt vmcnt(6) lgkmcnt(3)
	v_pk_fma_f32 v[20:21], s[30:31], v[54:55], v[20:21] op_sel_hi:[1,0,1]
	s_waitcnt vmcnt(5)
	v_pk_fma_f32 v[22:23], s[30:31], v[56:57], v[22:23] op_sel_hi:[1,0,1]
	s_waitcnt vmcnt(4) lgkmcnt(2)
	v_pk_fma_f32 v[24:25], s[30:31], v[58:59], v[24:25] op_sel_hi:[1,0,1]
	v_pk_fma_f32 v[2:3], s[20:21], v[52:53], v[2:3] op_sel:[0,1,0]
	v_pk_fma_f32 v[20:21], s[20:21], v[54:55], v[20:21] op_sel:[0,1,0]
	;; [unrolled: 1-line block ×4, first 2 shown]
	s_waitcnt vmcnt(3)
	v_pk_fma_f32 v[26:27], s[30:31], v[28:29], v[26:27] op_sel_hi:[1,0,1]
	s_waitcnt vmcnt(2) lgkmcnt(1)
	v_pk_fma_f32 v[48:49], s[30:31], v[60:61], v[48:49] op_sel_hi:[1,0,1]
	s_waitcnt vmcnt(1)
	v_pk_fma_f32 v[50:51], s[30:31], v[62:63], v[50:51] op_sel_hi:[1,0,1]
	s_waitcnt vmcnt(0) lgkmcnt(0)
	v_pk_fma_f32 v[0:1], s[30:31], v[64:65], v[0:1] op_sel_hi:[1,0,1]
	v_pk_fma_f32 v[26:27], s[20:21], v[28:29], v[26:27] op_sel:[0,1,0]
	v_pk_fma_f32 v[28:29], s[20:21], v[60:61], v[48:49] op_sel:[0,1,0]
	;; [unrolled: 1-line block ×4, first 2 shown]
	ds_write2_b64 v5, v[2:3], v[20:21] offset0:1 offset1:2
	ds_write2_b64 v5, v[22:23], v[24:25] offset0:3 offset1:4
	;; [unrolled: 1-line block ×4, first 2 shown]
.LBB19_36:                              ;   in Loop: Header=BB19_29 Depth=2
	s_or_b64 exec, exec, s[36:37]
	s_mov_b64 s[36:37], -1
	s_and_saveexec_b64 s[38:39], s[2:3]
	s_cbranch_execz .LBB19_28
; %bb.37:                               ;   in Loop: Header=BB19_29 Depth=2
	v_add_u32_e32 v6, 64, v6
	v_cmp_ge_i32_e32 vcc, v6, v33
	v_add_u32_e32 v18, 0x240, v18
	s_orn2_b64 s[36:37], vcc, exec
	s_branch .LBB19_28
.LBB19_38:                              ;   in Loop: Header=BB19_13 Depth=1
	s_or_b64 exec, exec, s[34:35]
.LBB19_39:                              ;   in Loop: Header=BB19_13 Depth=1
	s_or_b64 exec, exec, s[12:13]
	s_waitcnt lgkmcnt(0)
	ds_read_u8 v0, v43
	s_waitcnt lgkmcnt(0)
	v_and_b32_e32 v1, 1, v0
	v_cmp_eq_u32_e64 s[2:3], 1, v1
	v_cmp_ne_u16_e32 vcc, 0, v0
	s_and_saveexec_b64 s[12:13], s[2:3]
	s_cbranch_execz .LBB19_12
; %bb.40:                               ;   in Loop: Header=BB19_13 Depth=1
	v_and_b32_e32 v1, vcc_lo, v10
	v_and_b32_e32 v0, vcc_hi, v11
	v_bcnt_u32_b32 v1, v1, 0
	v_bcnt_u32_b32 v0, v0, v1
	v_add3_u32 v0, v34, v0, -1
	v_ashrrev_i32_e32 v1, 31, v0
	v_lshlrev_b64 v[2:3], 2, v[0:1]
	v_mov_b32_e32 v1, s25
	v_add_co_u32_e64 v2, s[2:3], s24, v2
	v_add_u32_e32 v5, v36, v46
	v_addc_co_u32_e64 v3, s[2:3], v1, v3, s[2:3]
	global_store_dword v[2:3], v5, off
	v_lshl_add_u32 v8, v0, 3, v0
	ds_read2_b64 v[0:3], v35 offset1:4
	v_lshlrev_b64 v[18:19], 3, v[8:9]
	v_mov_b32_e32 v5, s27
	v_add_co_u32_e64 v18, s[2:3], s26, v18
	v_addc_co_u32_e64 v19, s[2:3], v5, v19, s[2:3]
	s_waitcnt lgkmcnt(0)
	global_store_dwordx2 v[18:19], v[0:1], off
	v_add_u32_e32 v0, 1, v8
	v_mov_b32_e32 v1, v9
	v_lshlrev_b64 v[0:1], 3, v[0:1]
	v_add_co_u32_e64 v0, s[2:3], s26, v0
	v_add_u32_e32 v18, 2, v8
	v_mov_b32_e32 v19, v9
	v_addc_co_u32_e64 v1, s[2:3], v5, v1, s[2:3]
	v_lshlrev_b64 v[18:19], 3, v[18:19]
	v_add_co_u32_e64 v18, s[2:3], s26, v18
	v_add_u32_e32 v20, 3, v8
	v_mov_b32_e32 v21, v9
	v_addc_co_u32_e64 v19, s[2:3], v5, v19, s[2:3]
	;; [unrolled: 5-line block ×6, first 2 shown]
	v_lshlrev_b64 v[28:29], 3, v[28:29]
	v_add_co_u32_e64 v28, s[2:3], s26, v28
	v_add_u32_e32 v8, 8, v8
	v_addc_co_u32_e64 v29, s[2:3], v5, v29, s[2:3]
	v_lshlrev_b64 v[46:47], 3, v[8:9]
	v_add_co_u32_e64 v46, s[2:3], s26, v46
	v_addc_co_u32_e64 v47, s[2:3], v5, v47, s[2:3]
	v_add_u32_e32 v5, s33, v35
	v_add_u32_e32 v7, s40, v35
	ds_read_b64 v[48:49], v5
	ds_read_b64 v[50:51], v7
	v_add_u32_e32 v5, s41, v35
	ds_read_b64 v[52:53], v5
	ds_read_b64 v[54:55], v35 offset:64
	s_waitcnt lgkmcnt(3)
	global_store_dwordx2 v[0:1], v[48:49], off
	s_waitcnt lgkmcnt(2)
	global_store_dwordx2 v[18:19], v[50:51], off
	v_add_u32_e32 v0, s42, v35
	v_add_u32_e32 v5, s43, v35
	;; [unrolled: 1-line block ×3, first 2 shown]
	ds_read_b64 v[0:1], v0
	ds_read_b64 v[18:19], v5
	;; [unrolled: 1-line block ×3, first 2 shown]
	s_waitcnt lgkmcnt(4)
	global_store_dwordx2 v[20:21], v[52:53], off
	global_store_dwordx2 v[22:23], v[2:3], off
	s_waitcnt lgkmcnt(2)
	global_store_dwordx2 v[24:25], v[0:1], off
	s_waitcnt lgkmcnt(1)
	;; [unrolled: 2-line block ×3, first 2 shown]
	global_store_dwordx2 v[28:29], v[48:49], off
	global_store_dwordx2 v[46:47], v[54:55], off
	s_branch .LBB19_12
.LBB19_41:
	s_endpgm
.LBB19_42:
	s_load_dword s29, s[12:13], 0x4
	s_and_b64 vcc, exec, s[0:1]
	s_mov_b32 s30, s2
	s_cbranch_vccnz .LBB19_4
.LBB19_43:
	s_load_dword s30, s[2:3], 0x0
	s_and_b64 vcc, exec, s[0:1]
	s_mov_b32 s31, s3
	s_cbranch_vccz .LBB19_5
	s_branch .LBB19_6
	.section	.rodata,"a",@progbits
	.p2align	6, 0x0
	.amdhsa_kernel _ZN9rocsparseL39bsrgeam_wf_per_row_multipass_2_3_kernelILj256ELj3ELj64E21rocsparse_complex_numIfEEEv20rocsparse_direction_iiiNS_24const_host_device_scalarIT2_EEPKiS8_PKS5_S6_S8_S8_SA_S8_PiPS5_21rocsparse_index_base_SD_SD_b
		.amdhsa_group_segment_fixed_size 18688
		.amdhsa_private_segment_fixed_size 0
		.amdhsa_kernarg_size 120
		.amdhsa_user_sgpr_count 6
		.amdhsa_user_sgpr_private_segment_buffer 1
		.amdhsa_user_sgpr_dispatch_ptr 0
		.amdhsa_user_sgpr_queue_ptr 0
		.amdhsa_user_sgpr_kernarg_segment_ptr 1
		.amdhsa_user_sgpr_dispatch_id 0
		.amdhsa_user_sgpr_flat_scratch_init 0
		.amdhsa_user_sgpr_kernarg_preload_length 0
		.amdhsa_user_sgpr_kernarg_preload_offset 0
		.amdhsa_user_sgpr_private_segment_size 0
		.amdhsa_uses_dynamic_stack 0
		.amdhsa_system_sgpr_private_segment_wavefront_offset 0
		.amdhsa_system_sgpr_workgroup_id_x 1
		.amdhsa_system_sgpr_workgroup_id_y 0
		.amdhsa_system_sgpr_workgroup_id_z 0
		.amdhsa_system_sgpr_workgroup_info 0
		.amdhsa_system_vgpr_workitem_id 0
		.amdhsa_next_free_vgpr 80
		.amdhsa_next_free_sgpr 45
		.amdhsa_accum_offset 80
		.amdhsa_reserve_vcc 1
		.amdhsa_reserve_flat_scratch 0
		.amdhsa_float_round_mode_32 0
		.amdhsa_float_round_mode_16_64 0
		.amdhsa_float_denorm_mode_32 3
		.amdhsa_float_denorm_mode_16_64 3
		.amdhsa_dx10_clamp 1
		.amdhsa_ieee_mode 1
		.amdhsa_fp16_overflow 0
		.amdhsa_tg_split 0
		.amdhsa_exception_fp_ieee_invalid_op 0
		.amdhsa_exception_fp_denorm_src 0
		.amdhsa_exception_fp_ieee_div_zero 0
		.amdhsa_exception_fp_ieee_overflow 0
		.amdhsa_exception_fp_ieee_underflow 0
		.amdhsa_exception_fp_ieee_inexact 0
		.amdhsa_exception_int_div_zero 0
	.end_amdhsa_kernel
	.section	.text._ZN9rocsparseL39bsrgeam_wf_per_row_multipass_2_3_kernelILj256ELj3ELj64E21rocsparse_complex_numIfEEEv20rocsparse_direction_iiiNS_24const_host_device_scalarIT2_EEPKiS8_PKS5_S6_S8_S8_SA_S8_PiPS5_21rocsparse_index_base_SD_SD_b,"axG",@progbits,_ZN9rocsparseL39bsrgeam_wf_per_row_multipass_2_3_kernelILj256ELj3ELj64E21rocsparse_complex_numIfEEEv20rocsparse_direction_iiiNS_24const_host_device_scalarIT2_EEPKiS8_PKS5_S6_S8_S8_SA_S8_PiPS5_21rocsparse_index_base_SD_SD_b,comdat
.Lfunc_end19:
	.size	_ZN9rocsparseL39bsrgeam_wf_per_row_multipass_2_3_kernelILj256ELj3ELj64E21rocsparse_complex_numIfEEEv20rocsparse_direction_iiiNS_24const_host_device_scalarIT2_EEPKiS8_PKS5_S6_S8_S8_SA_S8_PiPS5_21rocsparse_index_base_SD_SD_b, .Lfunc_end19-_ZN9rocsparseL39bsrgeam_wf_per_row_multipass_2_3_kernelILj256ELj3ELj64E21rocsparse_complex_numIfEEEv20rocsparse_direction_iiiNS_24const_host_device_scalarIT2_EEPKiS8_PKS5_S6_S8_S8_SA_S8_PiPS5_21rocsparse_index_base_SD_SD_b
                                        ; -- End function
	.section	.AMDGPU.csdata,"",@progbits
; Kernel info:
; codeLenInByte = 3892
; NumSgprs: 49
; NumVgprs: 80
; NumAgprs: 0
; TotalNumVgprs: 80
; ScratchSize: 0
; MemoryBound: 0
; FloatMode: 240
; IeeeMode: 1
; LDSByteSize: 18688 bytes/workgroup (compile time only)
; SGPRBlocks: 6
; VGPRBlocks: 9
; NumSGPRsForWavesPerEU: 49
; NumVGPRsForWavesPerEU: 80
; AccumOffset: 80
; Occupancy: 3
; WaveLimiterHint : 1
; COMPUTE_PGM_RSRC2:SCRATCH_EN: 0
; COMPUTE_PGM_RSRC2:USER_SGPR: 6
; COMPUTE_PGM_RSRC2:TRAP_HANDLER: 0
; COMPUTE_PGM_RSRC2:TGID_X_EN: 1
; COMPUTE_PGM_RSRC2:TGID_Y_EN: 0
; COMPUTE_PGM_RSRC2:TGID_Z_EN: 0
; COMPUTE_PGM_RSRC2:TIDIG_COMP_CNT: 0
; COMPUTE_PGM_RSRC3_GFX90A:ACCUM_OFFSET: 19
; COMPUTE_PGM_RSRC3_GFX90A:TG_SPLIT: 0
	.section	.text._ZN9rocsparseL35bsrgeam_wf_per_row_multipass_kernelILj64ELj4E21rocsparse_complex_numIfEEEv20rocsparse_direction_iiiNS_24const_host_device_scalarIT1_EEPKiS8_PKS5_S6_S8_S8_SA_S8_PiPS5_21rocsparse_index_base_SD_SD_b,"axG",@progbits,_ZN9rocsparseL35bsrgeam_wf_per_row_multipass_kernelILj64ELj4E21rocsparse_complex_numIfEEEv20rocsparse_direction_iiiNS_24const_host_device_scalarIT1_EEPKiS8_PKS5_S6_S8_S8_SA_S8_PiPS5_21rocsparse_index_base_SD_SD_b,comdat
	.globl	_ZN9rocsparseL35bsrgeam_wf_per_row_multipass_kernelILj64ELj4E21rocsparse_complex_numIfEEEv20rocsparse_direction_iiiNS_24const_host_device_scalarIT1_EEPKiS8_PKS5_S6_S8_S8_SA_S8_PiPS5_21rocsparse_index_base_SD_SD_b ; -- Begin function _ZN9rocsparseL35bsrgeam_wf_per_row_multipass_kernelILj64ELj4E21rocsparse_complex_numIfEEEv20rocsparse_direction_iiiNS_24const_host_device_scalarIT1_EEPKiS8_PKS5_S6_S8_S8_SA_S8_PiPS5_21rocsparse_index_base_SD_SD_b
	.p2align	8
	.type	_ZN9rocsparseL35bsrgeam_wf_per_row_multipass_kernelILj64ELj4E21rocsparse_complex_numIfEEEv20rocsparse_direction_iiiNS_24const_host_device_scalarIT1_EEPKiS8_PKS5_S6_S8_S8_SA_S8_PiPS5_21rocsparse_index_base_SD_SD_b,@function
_ZN9rocsparseL35bsrgeam_wf_per_row_multipass_kernelILj64ELj4E21rocsparse_complex_numIfEEEv20rocsparse_direction_iiiNS_24const_host_device_scalarIT1_EEPKiS8_PKS5_S6_S8_S8_SA_S8_PiPS5_21rocsparse_index_base_SD_SD_b: ; @_ZN9rocsparseL35bsrgeam_wf_per_row_multipass_kernelILj64ELj4E21rocsparse_complex_numIfEEEv20rocsparse_direction_iiiNS_24const_host_device_scalarIT1_EEPKiS8_PKS5_S6_S8_S8_SA_S8_PiPS5_21rocsparse_index_base_SD_SD_b
; %bb.0:
	s_load_dwordx4 s[8:11], s[4:5], 0x68
	s_load_dwordx2 s[12:13], s[4:5], 0x10
	s_load_dwordx2 s[2:3], s[4:5], 0x30
	s_waitcnt lgkmcnt(0)
	s_bitcmp1_b32 s11, 0
	s_cselect_b64 s[0:1], -1, 0
	s_xor_b64 s[14:15], s[0:1], -1
	s_and_b64 vcc, exec, s[0:1]
	s_mov_b32 s20, s12
	s_cbranch_vccnz .LBB20_2
; %bb.1:
	s_load_dword s20, s[12:13], 0x0
.LBB20_2:
	v_cndmask_b32_e64 v1, 0, 1, s[14:15]
	v_cmp_ne_u32_e64 s[0:1], 1, v1
	s_andn2_b64 vcc, exec, s[14:15]
	s_mov_b32 s21, s13
	s_cbranch_vccnz .LBB20_60
; %bb.3:
	s_load_dword s21, s[12:13], 0x4
	s_and_b64 vcc, exec, s[0:1]
	s_mov_b32 s22, s2
	s_cbranch_vccz .LBB20_61
.LBB20_4:
	s_load_dwordx2 s[16:17], s[4:5], 0x18
	s_and_b64 vcc, exec, s[0:1]
	s_mov_b32 s23, s3
	s_cbranch_vccnz .LBB20_6
.LBB20_5:
	s_load_dword s23, s[2:3], 0x4
.LBB20_6:
	s_load_dwordx4 s[12:15], s[4:5], 0x0
	v_lshrrev_b32_e32 v14, 4, v0
	v_lshl_or_b32 v8, s6, 2, v14
	v_mov_b32_e32 v1, 0
	v_ashrrev_i32_e32 v9, 31, v8
	s_waitcnt lgkmcnt(0)
	v_cmp_le_i32_e32 vcc, s13, v8
	v_cmp_gt_i32_e64 s[0:1], s13, v8
	v_mov_b32_e32 v2, 0
	s_and_saveexec_b64 s[6:7], s[0:1]
	s_cbranch_execz .LBB20_8
; %bb.7:
	v_lshlrev_b64 v[2:3], 2, v[8:9]
	v_mov_b32_e32 v4, s17
	v_add_co_u32_e64 v2, s[2:3], s16, v2
	v_addc_co_u32_e64 v3, s[2:3], v4, v3, s[2:3]
	global_load_dword v2, v[2:3], off
	s_waitcnt vmcnt(0)
	v_subrev_u32_e32 v2, s8, v2
.LBB20_8:
	s_or_b64 exec, exec, s[6:7]
	s_load_dwordx2 s[6:7], s[4:5], 0x38
	s_and_saveexec_b64 s[18:19], s[0:1]
	s_cbranch_execz .LBB20_10
; %bb.9:
	v_lshlrev_b64 v[4:5], 2, v[8:9]
	v_mov_b32_e32 v1, s17
	v_add_co_u32_e64 v4, s[2:3], s16, v4
	v_addc_co_u32_e64 v5, s[2:3], v1, v5, s[2:3]
	global_load_dword v1, v[4:5], off offset:4
	s_waitcnt vmcnt(0)
	v_subrev_u32_e32 v1, s8, v1
.LBB20_10:
	s_or_b64 exec, exec, s[18:19]
	v_mov_b32_e32 v11, 0
	v_mov_b32_e32 v4, 0
	s_and_saveexec_b64 s[16:17], s[0:1]
	s_cbranch_execz .LBB20_12
; %bb.11:
	v_lshlrev_b64 v[4:5], 2, v[8:9]
	s_waitcnt lgkmcnt(0)
	v_mov_b32_e32 v3, s7
	v_add_co_u32_e64 v4, s[2:3], s6, v4
	v_addc_co_u32_e64 v5, s[2:3], v3, v5, s[2:3]
	global_load_dword v3, v[4:5], off
	s_waitcnt vmcnt(0)
	v_subrev_u32_e32 v4, s9, v3
.LBB20_12:
	s_or_b64 exec, exec, s[16:17]
	s_and_saveexec_b64 s[16:17], s[0:1]
	s_cbranch_execz .LBB20_14
; %bb.13:
	v_lshlrev_b64 v[6:7], 2, v[8:9]
	s_waitcnt lgkmcnt(0)
	v_mov_b32_e32 v3, s7
	v_add_co_u32_e64 v6, s[2:3], s6, v6
	v_addc_co_u32_e64 v7, s[2:3], v3, v7, s[2:3]
	global_load_dword v3, v[6:7], off offset:4
	s_waitcnt vmcnt(0)
	v_subrev_u32_e32 v11, s9, v3
.LBB20_14:
	s_or_b64 exec, exec, s[16:17]
	s_load_dwordx2 s[24:25], s[4:5], 0x20
	v_mov_b32_e32 v6, 0
	s_and_saveexec_b64 s[2:3], s[0:1]
	s_cbranch_execz .LBB20_16
; %bb.15:
	s_load_dwordx2 s[0:1], s[4:5], 0x50
	v_lshlrev_b64 v[6:7], 2, v[8:9]
	s_waitcnt lgkmcnt(0)
	v_mov_b32_e32 v3, s1
	v_add_co_u32_e64 v6, s[0:1], s0, v6
	v_addc_co_u32_e64 v7, s[0:1], v3, v7, s[0:1]
	global_load_dword v3, v[6:7], off
	s_waitcnt vmcnt(0)
	v_subrev_u32_e32 v6, s10, v3
.LBB20_16:
	s_or_b64 exec, exec, s[2:3]
	s_load_dwordx2 s[26:27], s[4:5], 0x40
	v_cmp_lt_i32_e64 s[0:1], v2, v1
	v_mov_b32_e32 v3, s14
	s_and_saveexec_b64 s[2:3], s[0:1]
	s_cbranch_execz .LBB20_18
; %bb.17:
	v_ashrrev_i32_e32 v3, 31, v2
	v_lshlrev_b64 v[8:9], 2, v[2:3]
	s_waitcnt lgkmcnt(0)
	v_mov_b32_e32 v3, s25
	v_add_co_u32_e64 v8, s[0:1], s24, v8
	v_addc_co_u32_e64 v9, s[0:1], v3, v9, s[0:1]
	global_load_dword v3, v[8:9], off
	s_waitcnt vmcnt(0)
	v_subrev_u32_e32 v3, s8, v3
.LBB20_18:
	s_or_b64 exec, exec, s[2:3]
	v_cmp_lt_i32_e64 s[0:1], v4, v11
	v_mov_b32_e32 v5, s14
	s_and_saveexec_b64 s[2:3], s[0:1]
	s_cbranch_execz .LBB20_20
; %bb.19:
	v_ashrrev_i32_e32 v5, 31, v4
	v_lshlrev_b64 v[8:9], 2, v[4:5]
	s_waitcnt lgkmcnt(0)
	v_mov_b32_e32 v5, s27
	v_add_co_u32_e64 v8, s[0:1], s26, v8
	v_addc_co_u32_e64 v9, s[0:1], v5, v9, s[0:1]
	global_load_dword v5, v[8:9], off
	s_waitcnt vmcnt(0)
	v_subrev_u32_e32 v5, s9, v5
.LBB20_20:
	s_or_b64 exec, exec, s[2:3]
	v_cndmask_b32_e64 v8, 0, 1, vcc
	v_lshlrev_b32_e32 v7, 2, v14
	ds_write_b32 v7, v8 offset:512
	v_mov_b32_e32 v8, 0
	s_waitcnt lgkmcnt(0)
	; wave barrier
	s_waitcnt lgkmcnt(0)
	ds_read_b32 v9, v8 offset:512
	s_waitcnt lgkmcnt(0)
	v_cmp_lt_u32_e32 vcc, 3, v9
	s_cbranch_vccnz .LBB20_62
; %bb.21:
	v_or_b32_e32 v13, 0x200, v7
	v_and_b32_e32 v10, 3, v0
	v_bfe_u32 v12, v0, 2, 2
	v_min_i32_e32 v7, v5, v3
	v_mov_b32_e32 v3, 0x210
	v_lshl_or_b32 v15, v14, 2, v3
	v_max_i32_e32 v3, v12, v10
	s_load_dwordx4 s[16:19], s[4:5], 0x58
	s_load_dwordx2 s[28:29], s[4:5], 0x28
	s_load_dwordx2 s[30:31], s[4:5], 0x48
	v_cmp_gt_i32_e64 s[0:1], s15, v3
	v_and_b32_e32 v3, 48, v0
	v_lshlrev_b32_e32 v5, 2, v12
	v_or3_b32 v5, v5, v3, v10
	v_lshlrev_b32_e32 v23, 3, v5
	v_lshlrev_b32_e32 v5, 2, v10
	s_cmp_eq_u32 s12, 0
	v_or3_b32 v3, v5, v3, v12
	s_cselect_b64 vcc, -1, 0
	s_cmp_lg_u32 s12, 0
	v_lshlrev_b32_e32 v24, 3, v3
	v_mov_b32_e32 v3, 0x200
	v_lshlrev_b32_e32 v22, 3, v0
	s_cselect_b64 s[12:13], -1, 0
	s_xor_b32 s34, s21, 0x80000000
	s_xor_b32 s36, s23, 0x80000000
	v_cmp_gt_u32_e64 s[2:3], 2, v0
	v_lshl_or_b32 v25, v0, 2, v3
	v_cmp_eq_u32_e64 s[4:5], 0, v0
	v_cndmask_b32_e32 v0, v12, v10, vcc
	v_cndmask_b32_e32 v14, v10, v12, vcc
	;; [unrolled: 1-line block ×3, first 2 shown]
	s_mov_b32 s35, s20
	s_mov_b32 s37, s22
	s_mul_i32 s11, s15, s15
	v_mov_b32_e32 v9, v8
	v_mov_b32_e32 v27, 1
	s_branch .LBB20_23
.LBB20_22:                              ;   in Loop: Header=BB20_23 Depth=1
	s_or_b64 exec, exec, s[6:7]
	s_waitcnt lgkmcnt(0)
	; wave barrier
	s_waitcnt lgkmcnt(0)
	ds_read_b32 v5, v8 offset:512
	v_add_u32_e32 v6, 1, v6
	v_mov_b32_e32 v7, v3
	s_waitcnt lgkmcnt(0)
	v_cmp_gt_u32_e32 vcc, 4, v5
	s_cbranch_vccz .LBB20_62
.LBB20_23:                              ; =>This Loop Header: Depth=1
                                        ;     Child Loop BB20_26 Depth 2
                                        ;     Child Loop BB20_41 Depth 2
	v_cmp_lt_i32_e32 vcc, v2, v1
	v_mov_b32_e32 v3, s14
	ds_write_b32 v15, v8
	ds_write_b64 v22, v[8:9]
	s_waitcnt lgkmcnt(0)
	; wave barrier
	s_waitcnt lgkmcnt(0)
	s_and_saveexec_b64 s[38:39], vcc
	s_cbranch_execz .LBB20_38
; %bb.24:                               ;   in Loop: Header=BB20_23 Depth=1
	v_mul_lo_u32 v3, s15, v2
	v_add_u32_e32 v5, v10, v3
	v_add_u32_e32 v3, v12, v3
	v_mad_u64_u32 v[18:19], s[6:7], s15, v3, v[10:11]
	v_ashrrev_i32_e32 v3, 31, v2
	v_lshlrev_b64 v[20:21], 2, v[2:3]
	v_mov_b32_e32 v3, s25
	v_add_co_u32_e32 v20, vcc, s24, v20
	v_mad_u64_u32 v[16:17], s[6:7], s15, v5, v[12:13]
	v_addc_co_u32_e32 v21, vcc, v3, v21, vcc
	s_mov_b32 s33, 0
	s_mov_b64 s[40:41], 0
	v_mov_b32_e32 v3, s14
	s_branch .LBB20_26
.LBB20_25:                              ;   in Loop: Header=BB20_26 Depth=2
	s_or_b64 exec, exec, s[44:45]
	s_and_b64 s[6:7], exec, s[42:43]
	v_mov_b32_e32 v17, v2
	s_or_b64 s[40:41], s[6:7], s[40:41]
	v_mov_b32_e32 v2, v5
	s_andn2_b64 exec, exec, s[40:41]
	s_cbranch_execz .LBB20_37
.LBB20_26:                              ;   Parent Loop BB20_23 Depth=1
                                        ; =>  This Inner Loop Header: Depth=2
	global_load_dword v5, v[20:21], off
	s_waitcnt vmcnt(0)
	v_subrev_u32_e32 v5, s8, v5
	v_cmp_le_i32_e64 s[6:7], v5, v7
	s_and_saveexec_b64 s[42:43], s[6:7]
	s_xor_b64 s[42:43], exec, s[42:43]
	s_cbranch_execz .LBB20_30
; %bb.27:                               ;   in Loop: Header=BB20_26 Depth=2
	ds_write_b32 v15, v27
	s_and_saveexec_b64 s[44:45], s[0:1]
	s_cbranch_execz .LBB20_36
; %bb.28:                               ;   in Loop: Header=BB20_26 Depth=2
	s_and_b64 vcc, exec, s[12:13]
	s_cbranch_vccz .LBB20_34
; %bb.29:                               ;   in Loop: Header=BB20_26 Depth=2
	v_add_u32_e32 v28, s33, v18
	v_ashrrev_i32_e32 v29, 31, v28
	v_lshlrev_b64 v[28:29], 3, v[28:29]
	v_mov_b32_e32 v5, s29
	v_add_co_u32_e32 v28, vcc, s28, v28
	v_addc_co_u32_e32 v29, vcc, v5, v29, vcc
	global_load_dwordx2 v[28:29], v[28:29], off
	s_waitcnt vmcnt(0)
	v_pk_mul_f32 v[30:31], v[28:29], s[34:35] op_sel:[1,0]
	v_pk_fma_f32 v[28:29], s[20:21], v[28:29], v[30:31] op_sel_hi:[1,0,1]
	ds_write_b64 v23, v[28:29]
	s_cbranch_execz .LBB20_35
	s_branch .LBB20_36
.LBB20_30:                              ;   in Loop: Header=BB20_26 Depth=2
	s_andn2_saveexec_b64 s[42:43], s[42:43]
.LBB20_31:                              ;   in Loop: Header=BB20_26 Depth=2
	v_min_i32_e32 v3, v5, v3
.LBB20_32:                              ;   in Loop: Header=BB20_26 Depth=2
	s_or_b64 exec, exec, s[42:43]
	s_mov_b64 s[42:43], -1
                                        ; implicit-def: $vgpr5
	s_and_saveexec_b64 s[44:45], s[6:7]
	s_cbranch_execz .LBB20_25
; %bb.33:                               ;   in Loop: Header=BB20_26 Depth=2
	v_add_co_u32_e32 v20, vcc, 4, v20
	v_add_u32_e32 v5, 1, v2
	v_addc_co_u32_e32 v21, vcc, 0, v21, vcc
	v_cmp_ge_i32_e32 vcc, v5, v1
	s_add_i32 s33, s33, s11
	s_orn2_b64 s[42:43], vcc, exec
	v_mov_b32_e32 v2, v1
	s_branch .LBB20_25
.LBB20_34:                              ;   in Loop: Header=BB20_26 Depth=2
.LBB20_35:                              ;   in Loop: Header=BB20_26 Depth=2
	v_add_u32_e32 v28, s33, v16
	v_ashrrev_i32_e32 v29, 31, v28
	v_lshlrev_b64 v[28:29], 3, v[28:29]
	v_mov_b32_e32 v5, s29
	v_add_co_u32_e32 v28, vcc, s28, v28
	v_addc_co_u32_e32 v29, vcc, v5, v29, vcc
	global_load_dwordx2 v[28:29], v[28:29], off
	s_waitcnt vmcnt(0)
	v_pk_mul_f32 v[30:31], v[28:29], s[34:35] op_sel:[1,0]
	v_pk_fma_f32 v[28:29], s[20:21], v[28:29], v[30:31] op_sel_hi:[1,0,1]
	ds_write_b64 v24, v[28:29]
.LBB20_36:                              ;   in Loop: Header=BB20_26 Depth=2
	s_or_b64 exec, exec, s[44:45]
                                        ; implicit-def: $vgpr5
	s_andn2_saveexec_b64 s[42:43], s[42:43]
	s_cbranch_execz .LBB20_32
	s_branch .LBB20_31
.LBB20_37:                              ;   in Loop: Header=BB20_23 Depth=1
	s_or_b64 exec, exec, s[40:41]
	v_mov_b32_e32 v2, v17
.LBB20_38:                              ;   in Loop: Header=BB20_23 Depth=1
	s_or_b64 exec, exec, s[38:39]
	v_cmp_lt_i32_e32 vcc, v4, v11
	s_waitcnt lgkmcnt(0)
	; wave barrier
	s_waitcnt lgkmcnt(0)
	s_and_saveexec_b64 s[38:39], vcc
	s_cbranch_execz .LBB20_53
; %bb.39:                               ;   in Loop: Header=BB20_23 Depth=1
	v_mul_lo_u32 v5, s15, v4
	v_add_u32_e32 v16, v10, v5
	v_add_u32_e32 v5, v12, v5
	v_mad_u64_u32 v[18:19], s[6:7], s15, v5, v[10:11]
	v_ashrrev_i32_e32 v5, 31, v4
	v_lshlrev_b64 v[20:21], 2, v[4:5]
	v_mov_b32_e32 v5, s27
	v_add_co_u32_e32 v20, vcc, s26, v20
	v_mad_u64_u32 v[16:17], s[6:7], s15, v16, v[12:13]
	v_addc_co_u32_e32 v21, vcc, v5, v21, vcc
	s_mov_b32 s33, 0
	s_mov_b64 s[40:41], 0
	s_branch .LBB20_41
.LBB20_40:                              ;   in Loop: Header=BB20_41 Depth=2
	s_or_b64 exec, exec, s[44:45]
	s_and_b64 s[6:7], exec, s[42:43]
	v_mov_b32_e32 v17, v4
	s_or_b64 s[40:41], s[6:7], s[40:41]
	v_mov_b32_e32 v4, v5
	s_andn2_b64 exec, exec, s[40:41]
	s_cbranch_execz .LBB20_52
.LBB20_41:                              ;   Parent Loop BB20_23 Depth=1
                                        ; =>  This Inner Loop Header: Depth=2
	global_load_dword v5, v[20:21], off
	s_waitcnt vmcnt(0)
	v_subrev_u32_e32 v5, s9, v5
	v_cmp_le_i32_e64 s[6:7], v5, v7
	s_and_saveexec_b64 s[42:43], s[6:7]
	s_xor_b64 s[42:43], exec, s[42:43]
	s_cbranch_execz .LBB20_45
; %bb.42:                               ;   in Loop: Header=BB20_41 Depth=2
	ds_write_b32 v15, v27
	s_and_saveexec_b64 s[44:45], s[0:1]
	s_cbranch_execz .LBB20_51
; %bb.43:                               ;   in Loop: Header=BB20_41 Depth=2
	s_and_b64 vcc, exec, s[12:13]
	s_cbranch_vccz .LBB20_49
; %bb.44:                               ;   in Loop: Header=BB20_41 Depth=2
	v_add_u32_e32 v28, s33, v18
	v_ashrrev_i32_e32 v29, 31, v28
	v_lshlrev_b64 v[28:29], 3, v[28:29]
	v_mov_b32_e32 v5, s31
	v_add_co_u32_e32 v28, vcc, s30, v28
	v_addc_co_u32_e32 v29, vcc, v5, v29, vcc
	global_load_dwordx2 v[28:29], v[28:29], off
	ds_read_b64 v[30:31], v23
	s_waitcnt vmcnt(0) lgkmcnt(0)
	v_pk_fma_f32 v[30:31], s[22:23], v[28:29], v[30:31] op_sel_hi:[1,0,1]
	v_pk_fma_f32 v[28:29], s[36:37], v[28:29], v[30:31] op_sel:[0,1,0]
	ds_write_b64 v23, v[28:29]
	s_cbranch_execz .LBB20_50
	s_branch .LBB20_51
.LBB20_45:                              ;   in Loop: Header=BB20_41 Depth=2
	s_andn2_saveexec_b64 s[42:43], s[42:43]
.LBB20_46:                              ;   in Loop: Header=BB20_41 Depth=2
	v_min_i32_e32 v3, v5, v3
.LBB20_47:                              ;   in Loop: Header=BB20_41 Depth=2
	s_or_b64 exec, exec, s[42:43]
	s_mov_b64 s[42:43], -1
                                        ; implicit-def: $vgpr5
	s_and_saveexec_b64 s[44:45], s[6:7]
	s_cbranch_execz .LBB20_40
; %bb.48:                               ;   in Loop: Header=BB20_41 Depth=2
	v_add_co_u32_e32 v20, vcc, 4, v20
	v_add_u32_e32 v5, 1, v4
	v_addc_co_u32_e32 v21, vcc, 0, v21, vcc
	v_cmp_ge_i32_e32 vcc, v5, v11
	s_add_i32 s33, s33, s11
	s_orn2_b64 s[42:43], vcc, exec
	v_mov_b32_e32 v4, v11
	s_branch .LBB20_40
.LBB20_49:                              ;   in Loop: Header=BB20_41 Depth=2
.LBB20_50:                              ;   in Loop: Header=BB20_41 Depth=2
	v_add_u32_e32 v28, s33, v16
	v_ashrrev_i32_e32 v29, 31, v28
	v_lshlrev_b64 v[28:29], 3, v[28:29]
	v_mov_b32_e32 v5, s31
	v_add_co_u32_e32 v28, vcc, s30, v28
	v_addc_co_u32_e32 v29, vcc, v5, v29, vcc
	global_load_dwordx2 v[28:29], v[28:29], off
	ds_read_b64 v[30:31], v24
	s_waitcnt vmcnt(0) lgkmcnt(0)
	v_pk_fma_f32 v[30:31], s[22:23], v[28:29], v[30:31] op_sel_hi:[1,0,1]
	v_pk_fma_f32 v[28:29], s[36:37], v[28:29], v[30:31] op_sel:[0,1,0]
	ds_write_b64 v24, v[28:29]
.LBB20_51:                              ;   in Loop: Header=BB20_41 Depth=2
	s_or_b64 exec, exec, s[44:45]
                                        ; implicit-def: $vgpr5
	s_andn2_saveexec_b64 s[42:43], s[42:43]
	s_cbranch_execz .LBB20_47
	s_branch .LBB20_46
.LBB20_52:                              ;   in Loop: Header=BB20_23 Depth=1
	s_or_b64 exec, exec, s[40:41]
	v_mov_b32_e32 v4, v17
.LBB20_53:                              ;   in Loop: Header=BB20_23 Depth=1
	s_or_b64 exec, exec, s[38:39]
	s_waitcnt lgkmcnt(0)
	; wave barrier
	s_waitcnt lgkmcnt(0)
	ds_read_b32 v5, v15
	s_waitcnt lgkmcnt(0)
	v_cmp_ne_u32_e32 vcc, 0, v5
	s_and_saveexec_b64 s[6:7], vcc
	s_cbranch_execz .LBB20_56
; %bb.54:                               ;   in Loop: Header=BB20_23 Depth=1
	v_add_u32_e32 v5, s10, v7
	v_ashrrev_i32_e32 v7, 31, v6
	v_lshlrev_b64 v[16:17], 2, v[6:7]
	v_mov_b32_e32 v7, s17
	v_add_co_u32_e32 v16, vcc, s16, v16
	v_addc_co_u32_e32 v17, vcc, v7, v17, vcc
	global_store_dword v[16:17], v5, off
	s_and_b64 exec, exec, s[0:1]
	s_cbranch_execz .LBB20_56
; %bb.55:                               ;   in Loop: Header=BB20_23 Depth=1
	v_mad_u64_u32 v[16:17], s[38:39], v6, s15, v[0:1]
	v_mad_u64_u32 v[16:17], s[38:39], v16, s15, v[14:15]
	ds_read_b64 v[18:19], v26
	v_ashrrev_i32_e32 v17, 31, v16
	v_lshlrev_b64 v[16:17], 3, v[16:17]
	v_mov_b32_e32 v5, s19
	v_add_co_u32_e32 v16, vcc, s18, v16
	v_addc_co_u32_e32 v17, vcc, v5, v17, vcc
	s_waitcnt lgkmcnt(0)
	global_store_dwordx2 v[16:17], v[18:19], off
.LBB20_56:                              ;   in Loop: Header=BB20_23 Depth=1
	s_or_b64 exec, exec, s[6:7]
	v_cmp_le_i32_e32 vcc, s14, v3
	v_cndmask_b32_e64 v5, 0, 1, vcc
	s_waitcnt lgkmcnt(0)
	; wave barrier
	s_waitcnt lgkmcnt(0)
	s_waitcnt lgkmcnt(0)
	; wave barrier
	ds_write_b32 v13, v5
	s_waitcnt lgkmcnt(0)
	; wave barrier
	s_waitcnt lgkmcnt(0)
	s_and_saveexec_b64 s[6:7], s[2:3]
	s_cbranch_execz .LBB20_58
; %bb.57:                               ;   in Loop: Header=BB20_23 Depth=1
	ds_read2_b32 v[16:17], v25 offset1:2
	s_waitcnt lgkmcnt(0)
	v_add_u32_e32 v5, v17, v16
	ds_write_b32 v25, v5
.LBB20_58:                              ;   in Loop: Header=BB20_23 Depth=1
	s_or_b64 exec, exec, s[6:7]
	s_waitcnt lgkmcnt(0)
	; wave barrier
	s_waitcnt lgkmcnt(0)
	s_and_saveexec_b64 s[6:7], s[4:5]
	s_cbranch_execz .LBB20_22
; %bb.59:                               ;   in Loop: Header=BB20_23 Depth=1
	ds_read_b64 v[16:17], v8 offset:512
	s_waitcnt lgkmcnt(0)
	v_add_u32_e32 v5, v17, v16
	ds_write_b32 v8, v5 offset:512
	s_branch .LBB20_22
.LBB20_60:
	s_and_b64 vcc, exec, s[0:1]
	s_mov_b32 s22, s2
	s_cbranch_vccnz .LBB20_4
.LBB20_61:
	s_load_dword s22, s[2:3], 0x0
	s_load_dwordx2 s[16:17], s[4:5], 0x18
	s_and_b64 vcc, exec, s[0:1]
	s_mov_b32 s23, s3
	s_cbranch_vccz .LBB20_5
	s_branch .LBB20_6
.LBB20_62:
	s_endpgm
	.section	.rodata,"a",@progbits
	.p2align	6, 0x0
	.amdhsa_kernel _ZN9rocsparseL35bsrgeam_wf_per_row_multipass_kernelILj64ELj4E21rocsparse_complex_numIfEEEv20rocsparse_direction_iiiNS_24const_host_device_scalarIT1_EEPKiS8_PKS5_S6_S8_S8_SA_S8_PiPS5_21rocsparse_index_base_SD_SD_b
		.amdhsa_group_segment_fixed_size 544
		.amdhsa_private_segment_fixed_size 0
		.amdhsa_kernarg_size 120
		.amdhsa_user_sgpr_count 6
		.amdhsa_user_sgpr_private_segment_buffer 1
		.amdhsa_user_sgpr_dispatch_ptr 0
		.amdhsa_user_sgpr_queue_ptr 0
		.amdhsa_user_sgpr_kernarg_segment_ptr 1
		.amdhsa_user_sgpr_dispatch_id 0
		.amdhsa_user_sgpr_flat_scratch_init 0
		.amdhsa_user_sgpr_kernarg_preload_length 0
		.amdhsa_user_sgpr_kernarg_preload_offset 0
		.amdhsa_user_sgpr_private_segment_size 0
		.amdhsa_uses_dynamic_stack 0
		.amdhsa_system_sgpr_private_segment_wavefront_offset 0
		.amdhsa_system_sgpr_workgroup_id_x 1
		.amdhsa_system_sgpr_workgroup_id_y 0
		.amdhsa_system_sgpr_workgroup_id_z 0
		.amdhsa_system_sgpr_workgroup_info 0
		.amdhsa_system_vgpr_workitem_id 0
		.amdhsa_next_free_vgpr 32
		.amdhsa_next_free_sgpr 46
		.amdhsa_accum_offset 32
		.amdhsa_reserve_vcc 1
		.amdhsa_reserve_flat_scratch 0
		.amdhsa_float_round_mode_32 0
		.amdhsa_float_round_mode_16_64 0
		.amdhsa_float_denorm_mode_32 3
		.amdhsa_float_denorm_mode_16_64 3
		.amdhsa_dx10_clamp 1
		.amdhsa_ieee_mode 1
		.amdhsa_fp16_overflow 0
		.amdhsa_tg_split 0
		.amdhsa_exception_fp_ieee_invalid_op 0
		.amdhsa_exception_fp_denorm_src 0
		.amdhsa_exception_fp_ieee_div_zero 0
		.amdhsa_exception_fp_ieee_overflow 0
		.amdhsa_exception_fp_ieee_underflow 0
		.amdhsa_exception_fp_ieee_inexact 0
		.amdhsa_exception_int_div_zero 0
	.end_amdhsa_kernel
	.section	.text._ZN9rocsparseL35bsrgeam_wf_per_row_multipass_kernelILj64ELj4E21rocsparse_complex_numIfEEEv20rocsparse_direction_iiiNS_24const_host_device_scalarIT1_EEPKiS8_PKS5_S6_S8_S8_SA_S8_PiPS5_21rocsparse_index_base_SD_SD_b,"axG",@progbits,_ZN9rocsparseL35bsrgeam_wf_per_row_multipass_kernelILj64ELj4E21rocsparse_complex_numIfEEEv20rocsparse_direction_iiiNS_24const_host_device_scalarIT1_EEPKiS8_PKS5_S6_S8_S8_SA_S8_PiPS5_21rocsparse_index_base_SD_SD_b,comdat
.Lfunc_end20:
	.size	_ZN9rocsparseL35bsrgeam_wf_per_row_multipass_kernelILj64ELj4E21rocsparse_complex_numIfEEEv20rocsparse_direction_iiiNS_24const_host_device_scalarIT1_EEPKiS8_PKS5_S6_S8_S8_SA_S8_PiPS5_21rocsparse_index_base_SD_SD_b, .Lfunc_end20-_ZN9rocsparseL35bsrgeam_wf_per_row_multipass_kernelILj64ELj4E21rocsparse_complex_numIfEEEv20rocsparse_direction_iiiNS_24const_host_device_scalarIT1_EEPKiS8_PKS5_S6_S8_S8_SA_S8_PiPS5_21rocsparse_index_base_SD_SD_b
                                        ; -- End function
	.section	.AMDGPU.csdata,"",@progbits
; Kernel info:
; codeLenInByte = 2120
; NumSgprs: 50
; NumVgprs: 32
; NumAgprs: 0
; TotalNumVgprs: 32
; ScratchSize: 0
; MemoryBound: 0
; FloatMode: 240
; IeeeMode: 1
; LDSByteSize: 544 bytes/workgroup (compile time only)
; SGPRBlocks: 6
; VGPRBlocks: 3
; NumSGPRsForWavesPerEU: 50
; NumVGPRsForWavesPerEU: 32
; AccumOffset: 32
; Occupancy: 8
; WaveLimiterHint : 0
; COMPUTE_PGM_RSRC2:SCRATCH_EN: 0
; COMPUTE_PGM_RSRC2:USER_SGPR: 6
; COMPUTE_PGM_RSRC2:TRAP_HANDLER: 0
; COMPUTE_PGM_RSRC2:TGID_X_EN: 1
; COMPUTE_PGM_RSRC2:TGID_Y_EN: 0
; COMPUTE_PGM_RSRC2:TGID_Z_EN: 0
; COMPUTE_PGM_RSRC2:TIDIG_COMP_CNT: 0
; COMPUTE_PGM_RSRC3_GFX90A:ACCUM_OFFSET: 7
; COMPUTE_PGM_RSRC3_GFX90A:TG_SPLIT: 0
	.section	.text._ZN9rocsparseL35bsrgeam_wf_per_row_multipass_kernelILj64ELj8E21rocsparse_complex_numIfEEEv20rocsparse_direction_iiiNS_24const_host_device_scalarIT1_EEPKiS8_PKS5_S6_S8_S8_SA_S8_PiPS5_21rocsparse_index_base_SD_SD_b,"axG",@progbits,_ZN9rocsparseL35bsrgeam_wf_per_row_multipass_kernelILj64ELj8E21rocsparse_complex_numIfEEEv20rocsparse_direction_iiiNS_24const_host_device_scalarIT1_EEPKiS8_PKS5_S6_S8_S8_SA_S8_PiPS5_21rocsparse_index_base_SD_SD_b,comdat
	.globl	_ZN9rocsparseL35bsrgeam_wf_per_row_multipass_kernelILj64ELj8E21rocsparse_complex_numIfEEEv20rocsparse_direction_iiiNS_24const_host_device_scalarIT1_EEPKiS8_PKS5_S6_S8_S8_SA_S8_PiPS5_21rocsparse_index_base_SD_SD_b ; -- Begin function _ZN9rocsparseL35bsrgeam_wf_per_row_multipass_kernelILj64ELj8E21rocsparse_complex_numIfEEEv20rocsparse_direction_iiiNS_24const_host_device_scalarIT1_EEPKiS8_PKS5_S6_S8_S8_SA_S8_PiPS5_21rocsparse_index_base_SD_SD_b
	.p2align	8
	.type	_ZN9rocsparseL35bsrgeam_wf_per_row_multipass_kernelILj64ELj8E21rocsparse_complex_numIfEEEv20rocsparse_direction_iiiNS_24const_host_device_scalarIT1_EEPKiS8_PKS5_S6_S8_S8_SA_S8_PiPS5_21rocsparse_index_base_SD_SD_b,@function
_ZN9rocsparseL35bsrgeam_wf_per_row_multipass_kernelILj64ELj8E21rocsparse_complex_numIfEEEv20rocsparse_direction_iiiNS_24const_host_device_scalarIT1_EEPKiS8_PKS5_S6_S8_S8_SA_S8_PiPS5_21rocsparse_index_base_SD_SD_b: ; @_ZN9rocsparseL35bsrgeam_wf_per_row_multipass_kernelILj64ELj8E21rocsparse_complex_numIfEEEv20rocsparse_direction_iiiNS_24const_host_device_scalarIT1_EEPKiS8_PKS5_S6_S8_S8_SA_S8_PiPS5_21rocsparse_index_base_SD_SD_b
; %bb.0:
	s_load_dwordx4 s[8:11], s[4:5], 0x68
	s_load_dwordx2 s[12:13], s[4:5], 0x10
	s_load_dwordx2 s[2:3], s[4:5], 0x30
	s_waitcnt lgkmcnt(0)
	s_bitcmp1_b32 s11, 0
	s_cselect_b64 s[0:1], -1, 0
	s_xor_b64 s[14:15], s[0:1], -1
	s_and_b64 vcc, exec, s[0:1]
	s_mov_b32 s20, s12
	s_cbranch_vccnz .LBB21_2
; %bb.1:
	s_load_dword s20, s[12:13], 0x0
.LBB21_2:
	v_cndmask_b32_e64 v1, 0, 1, s[14:15]
	v_cmp_ne_u32_e64 s[0:1], 1, v1
	s_andn2_b64 vcc, exec, s[14:15]
	s_mov_b32 s21, s13
	s_cbranch_vccnz .LBB21_22
; %bb.3:
	s_load_dword s21, s[12:13], 0x4
	s_and_b64 vcc, exec, s[0:1]
	s_mov_b32 s22, s2
	s_cbranch_vccz .LBB21_23
.LBB21_4:
	s_load_dwordx2 s[18:19], s[4:5], 0x18
	s_and_b64 vcc, exec, s[0:1]
	s_mov_b32 s23, s3
	s_cbranch_vccnz .LBB21_6
.LBB21_5:
	s_load_dword s23, s[2:3], 0x4
.LBB21_6:
	s_load_dwordx4 s[12:15], s[4:5], 0x0
	v_mov_b32_e32 v8, s6
	v_mov_b32_e32 v1, 0
	v_mov_b32_e32 v2, 0
	s_waitcnt lgkmcnt(0)
	s_cmp_ge_i32 s6, s13
	s_cselect_b64 s[0:1], -1, 0
	s_cmp_lt_i32 s6, s13
	s_cselect_b64 s[2:3], -1, 0
	s_and_saveexec_b64 s[16:17], s[2:3]
	s_cbranch_execz .LBB21_8
; %bb.7:
	v_ashrrev_i32_e64 v9, 31, s6
	v_lshlrev_b64 v[2:3], 2, v[8:9]
	v_mov_b32_e32 v4, s19
	v_add_co_u32_e32 v2, vcc, s18, v2
	v_addc_co_u32_e32 v3, vcc, v4, v3, vcc
	global_load_dword v2, v[2:3], off
	s_waitcnt vmcnt(0)
	v_subrev_u32_e32 v2, s8, v2
.LBB21_8:
	s_or_b64 exec, exec, s[16:17]
	s_load_dwordx2 s[16:17], s[4:5], 0x38
	s_and_saveexec_b64 s[24:25], s[2:3]
	s_cbranch_execz .LBB21_10
; %bb.9:
	v_ashrrev_i32_e64 v9, 31, s6
	v_lshlrev_b64 v[4:5], 2, v[8:9]
	v_mov_b32_e32 v1, s19
	v_add_co_u32_e32 v4, vcc, s18, v4
	v_addc_co_u32_e32 v5, vcc, v1, v5, vcc
	global_load_dword v1, v[4:5], off offset:4
	s_waitcnt vmcnt(0)
	v_subrev_u32_e32 v1, s8, v1
.LBB21_10:
	s_or_b64 exec, exec, s[24:25]
	v_mov_b32_e32 v11, 0
	v_mov_b32_e32 v4, 0
	s_and_saveexec_b64 s[18:19], s[2:3]
	s_cbranch_execz .LBB21_12
; %bb.11:
	v_ashrrev_i32_e64 v9, 31, s6
	v_lshlrev_b64 v[4:5], 2, v[8:9]
	s_waitcnt lgkmcnt(0)
	v_mov_b32_e32 v3, s17
	v_add_co_u32_e32 v4, vcc, s16, v4
	v_addc_co_u32_e32 v5, vcc, v3, v5, vcc
	global_load_dword v3, v[4:5], off
	s_waitcnt vmcnt(0)
	v_subrev_u32_e32 v4, s9, v3
.LBB21_12:
	s_or_b64 exec, exec, s[18:19]
	s_and_saveexec_b64 s[18:19], s[2:3]
	s_cbranch_execz .LBB21_14
; %bb.13:
	v_ashrrev_i32_e64 v9, 31, s6
	v_lshlrev_b64 v[6:7], 2, v[8:9]
	s_waitcnt lgkmcnt(0)
	v_mov_b32_e32 v3, s17
	v_add_co_u32_e32 v6, vcc, s16, v6
	v_addc_co_u32_e32 v7, vcc, v3, v7, vcc
	global_load_dword v3, v[6:7], off offset:4
	s_waitcnt vmcnt(0)
	v_subrev_u32_e32 v11, s9, v3
.LBB21_14:
	s_or_b64 exec, exec, s[18:19]
	s_load_dwordx2 s[24:25], s[4:5], 0x20
	v_mov_b32_e32 v6, 0
	s_waitcnt lgkmcnt(0)
	s_and_saveexec_b64 s[16:17], s[2:3]
	s_cbranch_execz .LBB21_16
; %bb.15:
	s_load_dwordx2 s[2:3], s[4:5], 0x50
	v_ashrrev_i32_e64 v9, 31, s6
	v_lshlrev_b64 v[6:7], 2, v[8:9]
	s_waitcnt lgkmcnt(0)
	v_mov_b32_e32 v3, s3
	v_add_co_u32_e32 v6, vcc, s2, v6
	v_addc_co_u32_e32 v7, vcc, v3, v7, vcc
	global_load_dword v3, v[6:7], off
	s_waitcnt vmcnt(0)
	v_subrev_u32_e32 v6, s10, v3
.LBB21_16:
	s_or_b64 exec, exec, s[16:17]
	s_load_dwordx2 s[6:7], s[4:5], 0x40
	v_cmp_lt_i32_e32 vcc, v2, v1
	v_mov_b32_e32 v3, s14
	s_and_saveexec_b64 s[2:3], vcc
	s_cbranch_execz .LBB21_18
; %bb.17:
	v_ashrrev_i32_e32 v3, 31, v2
	v_lshlrev_b64 v[8:9], 2, v[2:3]
	v_mov_b32_e32 v3, s25
	v_add_co_u32_e32 v8, vcc, s24, v8
	v_addc_co_u32_e32 v9, vcc, v3, v9, vcc
	global_load_dword v3, v[8:9], off
	s_waitcnt vmcnt(0)
	v_subrev_u32_e32 v3, s8, v3
.LBB21_18:
	s_or_b64 exec, exec, s[2:3]
	v_cmp_lt_i32_e32 vcc, v4, v11
	v_mov_b32_e32 v5, s14
	s_and_saveexec_b64 s[2:3], vcc
	s_cbranch_execz .LBB21_20
; %bb.19:
	v_ashrrev_i32_e32 v5, 31, v4
	v_lshlrev_b64 v[8:9], 2, v[4:5]
	s_waitcnt lgkmcnt(0)
	v_mov_b32_e32 v5, s7
	v_add_co_u32_e32 v8, vcc, s6, v8
	v_addc_co_u32_e32 v9, vcc, v5, v9, vcc
	global_load_dword v5, v[8:9], off
	s_waitcnt vmcnt(0)
	v_subrev_u32_e32 v5, s9, v5
.LBB21_20:
	s_or_b64 exec, exec, s[2:3]
	v_cndmask_b32_e64 v7, 0, 1, s[0:1]
	v_mov_b32_e32 v8, 0
	ds_write_b32 v8, v7 offset:512
	s_waitcnt lgkmcnt(0)
	; wave barrier
	s_waitcnt lgkmcnt(0)
	ds_read_b32 v7, v8 offset:512
	s_waitcnt lgkmcnt(0)
	v_cmp_ne_u32_e32 vcc, 0, v7
	s_cbranch_vccz .LBB21_24
.LBB21_21:
	s_endpgm
.LBB21_22:
	s_and_b64 vcc, exec, s[0:1]
	s_mov_b32 s22, s2
	s_cbranch_vccnz .LBB21_4
.LBB21_23:
	s_load_dword s22, s[2:3], 0x0
	s_load_dwordx2 s[18:19], s[4:5], 0x18
	s_and_b64 vcc, exec, s[0:1]
	s_mov_b32 s23, s3
	s_cbranch_vccz .LBB21_5
	s_branch .LBB21_6
.LBB21_24:
	s_load_dwordx4 s[16:19], s[4:5], 0x58
	s_load_dwordx2 s[26:27], s[4:5], 0x28
	s_load_dwordx2 s[28:29], s[4:5], 0x48
	v_and_b32_e32 v10, 7, v0
	v_lshrrev_b32_e32 v12, 3, v0
	v_min_i32_e32 v3, v5, v3
	v_lshlrev_b32_e32 v22, 3, v0
	v_max_i32_e32 v5, v12, v10
	v_and_b32_e32 v0, 56, v0
	v_cmp_gt_i32_e64 s[0:1], s15, v5
	s_cmp_eq_u32 s12, 0
	v_or_b32_e32 v5, v0, v10
	s_cselect_b64 vcc, -1, 0
	s_cmp_lg_u32 s12, 0
	v_lshlrev_b32_e32 v23, 3, v5
	v_lshl_or_b32 v24, v10, 6, v0
	v_mov_b32_e32 v13, 0x200
	v_mov_b32_e32 v15, 0x204
	s_cselect_b64 s[4:5], -1, 0
	s_xor_b32 s12, s21, 0x80000000
	s_xor_b32 s30, s23, 0x80000000
	v_cndmask_b32_e32 v0, v12, v10, vcc
	v_cndmask_b32_e32 v14, v10, v12, vcc
	;; [unrolled: 1-line block ×3, first 2 shown]
	s_mov_b32 s13, s20
	s_mov_b32 s31, s22
	s_mul_i32 s11, s15, s15
	v_mov_b32_e32 v9, v8
	v_mov_b32_e32 v26, 1
	s_branch .LBB21_26
.LBB21_25:                              ;   in Loop: Header=BB21_26 Depth=1
	s_or_b64 exec, exec, s[2:3]
	v_cmp_le_i32_e32 vcc, s14, v3
	v_cndmask_b32_e64 v5, 0, 1, vcc
	s_waitcnt lgkmcnt(0)
	; wave barrier
	s_waitcnt lgkmcnt(0)
	s_waitcnt lgkmcnt(0)
	; wave barrier
	ds_write_b32 v13, v5
	s_waitcnt lgkmcnt(0)
	; wave barrier
	s_waitcnt lgkmcnt(0)
	ds_read_b32 v5, v8 offset:512
	v_add_u32_e32 v6, 1, v6
	s_waitcnt lgkmcnt(0)
	v_cmp_eq_u32_e32 vcc, 0, v5
	s_cbranch_vccz .LBB21_21
.LBB21_26:                              ; =>This Loop Header: Depth=1
                                        ;     Child Loop BB21_29 Depth 2
                                        ;     Child Loop BB21_44 Depth 2
	v_mov_b32_e32 v7, v3
	v_cmp_lt_i32_e32 vcc, v2, v1
	v_mov_b32_e32 v3, s14
	ds_write_b32 v15, v8
	ds_write_b64 v22, v[8:9]
	s_waitcnt lgkmcnt(0)
	; wave barrier
	s_waitcnt lgkmcnt(0)
	s_and_saveexec_b64 s[34:35], vcc
	s_cbranch_execz .LBB21_41
; %bb.27:                               ;   in Loop: Header=BB21_26 Depth=1
	v_mul_lo_u32 v3, s15, v2
	v_add_u32_e32 v5, v10, v3
	v_add_u32_e32 v3, v12, v3
	v_mad_u64_u32 v[18:19], s[2:3], s15, v3, v[10:11]
	v_ashrrev_i32_e32 v3, 31, v2
	v_lshlrev_b64 v[20:21], 2, v[2:3]
	v_mov_b32_e32 v3, s25
	v_add_co_u32_e32 v20, vcc, s24, v20
	v_mad_u64_u32 v[16:17], s[2:3], s15, v5, v[12:13]
	v_addc_co_u32_e32 v21, vcc, v3, v21, vcc
	s_mov_b32 s33, 0
	s_mov_b64 s[36:37], 0
	v_mov_b32_e32 v3, s14
	s_branch .LBB21_29
.LBB21_28:                              ;   in Loop: Header=BB21_29 Depth=2
	s_or_b64 exec, exec, s[40:41]
	s_and_b64 s[2:3], exec, s[38:39]
	v_mov_b32_e32 v17, v2
	s_or_b64 s[36:37], s[2:3], s[36:37]
	v_mov_b32_e32 v2, v5
	s_andn2_b64 exec, exec, s[36:37]
	s_cbranch_execz .LBB21_40
.LBB21_29:                              ;   Parent Loop BB21_26 Depth=1
                                        ; =>  This Inner Loop Header: Depth=2
	global_load_dword v5, v[20:21], off
	s_waitcnt vmcnt(0)
	v_subrev_u32_e32 v5, s8, v5
	v_cmp_le_i32_e64 s[2:3], v5, v7
	s_and_saveexec_b64 s[38:39], s[2:3]
	s_xor_b64 s[38:39], exec, s[38:39]
	s_cbranch_execz .LBB21_35
; %bb.30:                               ;   in Loop: Header=BB21_29 Depth=2
	ds_write_b32 v15, v26
	s_and_saveexec_b64 s[40:41], s[0:1]
	s_cbranch_execz .LBB21_34
; %bb.31:                               ;   in Loop: Header=BB21_29 Depth=2
	s_and_b64 vcc, exec, s[4:5]
	s_cbranch_vccz .LBB21_39
; %bb.32:                               ;   in Loop: Header=BB21_29 Depth=2
	v_add_u32_e32 v28, s33, v18
	v_ashrrev_i32_e32 v29, 31, v28
	v_lshlrev_b64 v[28:29], 3, v[28:29]
	v_mov_b32_e32 v5, s27
	v_add_co_u32_e32 v28, vcc, s26, v28
	v_addc_co_u32_e32 v29, vcc, v5, v29, vcc
	global_load_dwordx2 v[28:29], v[28:29], off
	s_waitcnt vmcnt(0)
	v_pk_mul_f32 v[30:31], v[28:29], s[12:13] op_sel:[1,0]
	v_pk_fma_f32 v[28:29], s[20:21], v[28:29], v[30:31] op_sel_hi:[1,0,1]
	ds_write_b64 v23, v[28:29]
	s_cbranch_execnz .LBB21_34
.LBB21_33:                              ;   in Loop: Header=BB21_29 Depth=2
	v_add_u32_e32 v28, s33, v16
	v_ashrrev_i32_e32 v29, 31, v28
	v_lshlrev_b64 v[28:29], 3, v[28:29]
	v_mov_b32_e32 v5, s27
	v_add_co_u32_e32 v28, vcc, s26, v28
	v_addc_co_u32_e32 v29, vcc, v5, v29, vcc
	global_load_dwordx2 v[28:29], v[28:29], off
	s_waitcnt vmcnt(0)
	v_pk_mul_f32 v[30:31], v[28:29], s[12:13] op_sel:[1,0]
	v_pk_fma_f32 v[28:29], s[20:21], v[28:29], v[30:31] op_sel_hi:[1,0,1]
	ds_write_b64 v24, v[28:29]
.LBB21_34:                              ;   in Loop: Header=BB21_29 Depth=2
	s_or_b64 exec, exec, s[40:41]
                                        ; implicit-def: $vgpr5
	s_andn2_saveexec_b64 s[38:39], s[38:39]
	s_branch .LBB21_36
.LBB21_35:                              ;   in Loop: Header=BB21_29 Depth=2
	s_andn2_saveexec_b64 s[38:39], s[38:39]
.LBB21_36:                              ;   in Loop: Header=BB21_29 Depth=2
	v_min_i32_e32 v3, v5, v3
; %bb.37:                               ;   in Loop: Header=BB21_29 Depth=2
	s_or_b64 exec, exec, s[38:39]
	s_mov_b64 s[38:39], -1
                                        ; implicit-def: $vgpr5
	s_and_saveexec_b64 s[40:41], s[2:3]
	s_cbranch_execz .LBB21_28
; %bb.38:                               ;   in Loop: Header=BB21_29 Depth=2
	v_add_co_u32_e32 v20, vcc, 4, v20
	v_add_u32_e32 v5, 1, v2
	v_addc_co_u32_e32 v21, vcc, 0, v21, vcc
	v_cmp_ge_i32_e32 vcc, v5, v1
	s_add_i32 s33, s33, s11
	s_orn2_b64 s[38:39], vcc, exec
	v_mov_b32_e32 v2, v1
	s_branch .LBB21_28
.LBB21_39:                              ;   in Loop: Header=BB21_29 Depth=2
	s_branch .LBB21_33
.LBB21_40:                              ;   in Loop: Header=BB21_26 Depth=1
	s_or_b64 exec, exec, s[36:37]
	v_mov_b32_e32 v2, v17
.LBB21_41:                              ;   in Loop: Header=BB21_26 Depth=1
	s_or_b64 exec, exec, s[34:35]
	v_cmp_lt_i32_e32 vcc, v4, v11
	s_waitcnt lgkmcnt(0)
	; wave barrier
	s_waitcnt lgkmcnt(0)
	s_and_saveexec_b64 s[34:35], vcc
	s_cbranch_execz .LBB21_56
; %bb.42:                               ;   in Loop: Header=BB21_26 Depth=1
	v_mul_lo_u32 v5, s15, v4
	v_add_u32_e32 v16, v10, v5
	v_add_u32_e32 v5, v12, v5
	v_mad_u64_u32 v[18:19], s[2:3], s15, v5, v[10:11]
	v_ashrrev_i32_e32 v5, 31, v4
	v_lshlrev_b64 v[20:21], 2, v[4:5]
	v_mov_b32_e32 v5, s7
	v_add_co_u32_e32 v20, vcc, s6, v20
	v_mad_u64_u32 v[16:17], s[2:3], s15, v16, v[12:13]
	v_addc_co_u32_e32 v21, vcc, v5, v21, vcc
	s_mov_b32 s33, 0
	s_mov_b64 s[36:37], 0
	s_branch .LBB21_44
.LBB21_43:                              ;   in Loop: Header=BB21_44 Depth=2
	s_or_b64 exec, exec, s[40:41]
	s_and_b64 s[2:3], exec, s[38:39]
	v_mov_b32_e32 v17, v4
	s_or_b64 s[36:37], s[2:3], s[36:37]
	v_mov_b32_e32 v4, v5
	s_andn2_b64 exec, exec, s[36:37]
	s_cbranch_execz .LBB21_55
.LBB21_44:                              ;   Parent Loop BB21_26 Depth=1
                                        ; =>  This Inner Loop Header: Depth=2
	global_load_dword v5, v[20:21], off
	s_waitcnt vmcnt(0)
	v_subrev_u32_e32 v5, s9, v5
	v_cmp_le_i32_e64 s[2:3], v5, v7
	s_and_saveexec_b64 s[38:39], s[2:3]
	s_xor_b64 s[38:39], exec, s[38:39]
	s_cbranch_execz .LBB21_50
; %bb.45:                               ;   in Loop: Header=BB21_44 Depth=2
	ds_write_b32 v15, v26
	s_and_saveexec_b64 s[40:41], s[0:1]
	s_cbranch_execz .LBB21_49
; %bb.46:                               ;   in Loop: Header=BB21_44 Depth=2
	s_and_b64 vcc, exec, s[4:5]
	s_cbranch_vccz .LBB21_54
; %bb.47:                               ;   in Loop: Header=BB21_44 Depth=2
	v_add_u32_e32 v28, s33, v18
	v_ashrrev_i32_e32 v29, 31, v28
	v_lshlrev_b64 v[28:29], 3, v[28:29]
	v_mov_b32_e32 v5, s29
	v_add_co_u32_e32 v28, vcc, s28, v28
	v_addc_co_u32_e32 v29, vcc, v5, v29, vcc
	global_load_dwordx2 v[28:29], v[28:29], off
	ds_read_b64 v[30:31], v23
	s_waitcnt vmcnt(0) lgkmcnt(0)
	v_pk_fma_f32 v[30:31], s[22:23], v[28:29], v[30:31] op_sel_hi:[1,0,1]
	v_pk_fma_f32 v[28:29], s[30:31], v[28:29], v[30:31] op_sel:[0,1,0]
	ds_write_b64 v23, v[28:29]
	s_cbranch_execnz .LBB21_49
.LBB21_48:                              ;   in Loop: Header=BB21_44 Depth=2
	v_add_u32_e32 v28, s33, v16
	v_ashrrev_i32_e32 v29, 31, v28
	v_lshlrev_b64 v[28:29], 3, v[28:29]
	v_mov_b32_e32 v5, s29
	v_add_co_u32_e32 v28, vcc, s28, v28
	v_addc_co_u32_e32 v29, vcc, v5, v29, vcc
	global_load_dwordx2 v[28:29], v[28:29], off
	ds_read_b64 v[30:31], v24
	s_waitcnt vmcnt(0) lgkmcnt(0)
	v_pk_fma_f32 v[30:31], s[22:23], v[28:29], v[30:31] op_sel_hi:[1,0,1]
	v_pk_fma_f32 v[28:29], s[30:31], v[28:29], v[30:31] op_sel:[0,1,0]
	ds_write_b64 v24, v[28:29]
.LBB21_49:                              ;   in Loop: Header=BB21_44 Depth=2
	s_or_b64 exec, exec, s[40:41]
                                        ; implicit-def: $vgpr5
	s_andn2_saveexec_b64 s[38:39], s[38:39]
	s_branch .LBB21_51
.LBB21_50:                              ;   in Loop: Header=BB21_44 Depth=2
	s_andn2_saveexec_b64 s[38:39], s[38:39]
.LBB21_51:                              ;   in Loop: Header=BB21_44 Depth=2
	v_min_i32_e32 v3, v5, v3
; %bb.52:                               ;   in Loop: Header=BB21_44 Depth=2
	s_or_b64 exec, exec, s[38:39]
	s_mov_b64 s[38:39], -1
                                        ; implicit-def: $vgpr5
	s_and_saveexec_b64 s[40:41], s[2:3]
	s_cbranch_execz .LBB21_43
; %bb.53:                               ;   in Loop: Header=BB21_44 Depth=2
	v_add_co_u32_e32 v20, vcc, 4, v20
	v_add_u32_e32 v5, 1, v4
	v_addc_co_u32_e32 v21, vcc, 0, v21, vcc
	v_cmp_ge_i32_e32 vcc, v5, v11
	s_add_i32 s33, s33, s11
	s_orn2_b64 s[38:39], vcc, exec
	v_mov_b32_e32 v4, v11
	s_branch .LBB21_43
.LBB21_54:                              ;   in Loop: Header=BB21_44 Depth=2
	s_branch .LBB21_48
.LBB21_55:                              ;   in Loop: Header=BB21_26 Depth=1
	s_or_b64 exec, exec, s[36:37]
	v_mov_b32_e32 v4, v17
.LBB21_56:                              ;   in Loop: Header=BB21_26 Depth=1
	s_or_b64 exec, exec, s[34:35]
	s_waitcnt lgkmcnt(0)
	; wave barrier
	s_waitcnt lgkmcnt(0)
	ds_read_b32 v5, v15
	s_waitcnt lgkmcnt(0)
	v_cmp_ne_u32_e32 vcc, 0, v5
	s_and_saveexec_b64 s[2:3], vcc
	s_cbranch_execz .LBB21_25
; %bb.57:                               ;   in Loop: Header=BB21_26 Depth=1
	v_add_u32_e32 v5, s10, v7
	v_ashrrev_i32_e32 v7, 31, v6
	v_lshlrev_b64 v[16:17], 2, v[6:7]
	v_mov_b32_e32 v7, s17
	v_add_co_u32_e32 v16, vcc, s16, v16
	v_addc_co_u32_e32 v17, vcc, v7, v17, vcc
	global_store_dword v[16:17], v5, off
	s_and_b64 exec, exec, s[0:1]
	s_cbranch_execz .LBB21_25
; %bb.58:                               ;   in Loop: Header=BB21_26 Depth=1
	v_mad_u64_u32 v[16:17], s[34:35], v6, s15, v[0:1]
	v_mad_u64_u32 v[16:17], s[34:35], v16, s15, v[14:15]
	ds_read_b64 v[18:19], v25
	v_ashrrev_i32_e32 v17, 31, v16
	v_lshlrev_b64 v[16:17], 3, v[16:17]
	v_mov_b32_e32 v5, s19
	v_add_co_u32_e32 v16, vcc, s18, v16
	v_addc_co_u32_e32 v17, vcc, v5, v17, vcc
	s_waitcnt lgkmcnt(0)
	global_store_dwordx2 v[16:17], v[18:19], off
	s_branch .LBB21_25
	.section	.rodata,"a",@progbits
	.p2align	6, 0x0
	.amdhsa_kernel _ZN9rocsparseL35bsrgeam_wf_per_row_multipass_kernelILj64ELj8E21rocsparse_complex_numIfEEEv20rocsparse_direction_iiiNS_24const_host_device_scalarIT1_EEPKiS8_PKS5_S6_S8_S8_SA_S8_PiPS5_21rocsparse_index_base_SD_SD_b
		.amdhsa_group_segment_fixed_size 520
		.amdhsa_private_segment_fixed_size 0
		.amdhsa_kernarg_size 120
		.amdhsa_user_sgpr_count 6
		.amdhsa_user_sgpr_private_segment_buffer 1
		.amdhsa_user_sgpr_dispatch_ptr 0
		.amdhsa_user_sgpr_queue_ptr 0
		.amdhsa_user_sgpr_kernarg_segment_ptr 1
		.amdhsa_user_sgpr_dispatch_id 0
		.amdhsa_user_sgpr_flat_scratch_init 0
		.amdhsa_user_sgpr_kernarg_preload_length 0
		.amdhsa_user_sgpr_kernarg_preload_offset 0
		.amdhsa_user_sgpr_private_segment_size 0
		.amdhsa_uses_dynamic_stack 0
		.amdhsa_system_sgpr_private_segment_wavefront_offset 0
		.amdhsa_system_sgpr_workgroup_id_x 1
		.amdhsa_system_sgpr_workgroup_id_y 0
		.amdhsa_system_sgpr_workgroup_id_z 0
		.amdhsa_system_sgpr_workgroup_info 0
		.amdhsa_system_vgpr_workitem_id 0
		.amdhsa_next_free_vgpr 32
		.amdhsa_next_free_sgpr 42
		.amdhsa_accum_offset 32
		.amdhsa_reserve_vcc 1
		.amdhsa_reserve_flat_scratch 0
		.amdhsa_float_round_mode_32 0
		.amdhsa_float_round_mode_16_64 0
		.amdhsa_float_denorm_mode_32 3
		.amdhsa_float_denorm_mode_16_64 3
		.amdhsa_dx10_clamp 1
		.amdhsa_ieee_mode 1
		.amdhsa_fp16_overflow 0
		.amdhsa_tg_split 0
		.amdhsa_exception_fp_ieee_invalid_op 0
		.amdhsa_exception_fp_denorm_src 0
		.amdhsa_exception_fp_ieee_div_zero 0
		.amdhsa_exception_fp_ieee_overflow 0
		.amdhsa_exception_fp_ieee_underflow 0
		.amdhsa_exception_fp_ieee_inexact 0
		.amdhsa_exception_int_div_zero 0
	.end_amdhsa_kernel
	.section	.text._ZN9rocsparseL35bsrgeam_wf_per_row_multipass_kernelILj64ELj8E21rocsparse_complex_numIfEEEv20rocsparse_direction_iiiNS_24const_host_device_scalarIT1_EEPKiS8_PKS5_S6_S8_S8_SA_S8_PiPS5_21rocsparse_index_base_SD_SD_b,"axG",@progbits,_ZN9rocsparseL35bsrgeam_wf_per_row_multipass_kernelILj64ELj8E21rocsparse_complex_numIfEEEv20rocsparse_direction_iiiNS_24const_host_device_scalarIT1_EEPKiS8_PKS5_S6_S8_S8_SA_S8_PiPS5_21rocsparse_index_base_SD_SD_b,comdat
.Lfunc_end21:
	.size	_ZN9rocsparseL35bsrgeam_wf_per_row_multipass_kernelILj64ELj8E21rocsparse_complex_numIfEEEv20rocsparse_direction_iiiNS_24const_host_device_scalarIT1_EEPKiS8_PKS5_S6_S8_S8_SA_S8_PiPS5_21rocsparse_index_base_SD_SD_b, .Lfunc_end21-_ZN9rocsparseL35bsrgeam_wf_per_row_multipass_kernelILj64ELj8E21rocsparse_complex_numIfEEEv20rocsparse_direction_iiiNS_24const_host_device_scalarIT1_EEPKiS8_PKS5_S6_S8_S8_SA_S8_PiPS5_21rocsparse_index_base_SD_SD_b
                                        ; -- End function
	.section	.AMDGPU.csdata,"",@progbits
; Kernel info:
; codeLenInByte = 1928
; NumSgprs: 46
; NumVgprs: 32
; NumAgprs: 0
; TotalNumVgprs: 32
; ScratchSize: 0
; MemoryBound: 0
; FloatMode: 240
; IeeeMode: 1
; LDSByteSize: 520 bytes/workgroup (compile time only)
; SGPRBlocks: 5
; VGPRBlocks: 3
; NumSGPRsForWavesPerEU: 46
; NumVGPRsForWavesPerEU: 32
; AccumOffset: 32
; Occupancy: 8
; WaveLimiterHint : 0
; COMPUTE_PGM_RSRC2:SCRATCH_EN: 0
; COMPUTE_PGM_RSRC2:USER_SGPR: 6
; COMPUTE_PGM_RSRC2:TRAP_HANDLER: 0
; COMPUTE_PGM_RSRC2:TGID_X_EN: 1
; COMPUTE_PGM_RSRC2:TGID_Y_EN: 0
; COMPUTE_PGM_RSRC2:TGID_Z_EN: 0
; COMPUTE_PGM_RSRC2:TIDIG_COMP_CNT: 0
; COMPUTE_PGM_RSRC3_GFX90A:ACCUM_OFFSET: 7
; COMPUTE_PGM_RSRC3_GFX90A:TG_SPLIT: 0
	.section	.text._ZN9rocsparseL39bsrgeam_block_per_row_multipass_kernel2ILj256ELj16E21rocsparse_complex_numIfEEEv20rocsparse_direction_iiiNS_24const_host_device_scalarIT1_EEPKiS8_PKS5_S6_S8_S8_SA_S8_PiPS5_21rocsparse_index_base_SD_SD_b,"axG",@progbits,_ZN9rocsparseL39bsrgeam_block_per_row_multipass_kernel2ILj256ELj16E21rocsparse_complex_numIfEEEv20rocsparse_direction_iiiNS_24const_host_device_scalarIT1_EEPKiS8_PKS5_S6_S8_S8_SA_S8_PiPS5_21rocsparse_index_base_SD_SD_b,comdat
	.globl	_ZN9rocsparseL39bsrgeam_block_per_row_multipass_kernel2ILj256ELj16E21rocsparse_complex_numIfEEEv20rocsparse_direction_iiiNS_24const_host_device_scalarIT1_EEPKiS8_PKS5_S6_S8_S8_SA_S8_PiPS5_21rocsparse_index_base_SD_SD_b ; -- Begin function _ZN9rocsparseL39bsrgeam_block_per_row_multipass_kernel2ILj256ELj16E21rocsparse_complex_numIfEEEv20rocsparse_direction_iiiNS_24const_host_device_scalarIT1_EEPKiS8_PKS5_S6_S8_S8_SA_S8_PiPS5_21rocsparse_index_base_SD_SD_b
	.p2align	8
	.type	_ZN9rocsparseL39bsrgeam_block_per_row_multipass_kernel2ILj256ELj16E21rocsparse_complex_numIfEEEv20rocsparse_direction_iiiNS_24const_host_device_scalarIT1_EEPKiS8_PKS5_S6_S8_S8_SA_S8_PiPS5_21rocsparse_index_base_SD_SD_b,@function
_ZN9rocsparseL39bsrgeam_block_per_row_multipass_kernel2ILj256ELj16E21rocsparse_complex_numIfEEEv20rocsparse_direction_iiiNS_24const_host_device_scalarIT1_EEPKiS8_PKS5_S6_S8_S8_SA_S8_PiPS5_21rocsparse_index_base_SD_SD_b: ; @_ZN9rocsparseL39bsrgeam_block_per_row_multipass_kernel2ILj256ELj16E21rocsparse_complex_numIfEEEv20rocsparse_direction_iiiNS_24const_host_device_scalarIT1_EEPKiS8_PKS5_S6_S8_S8_SA_S8_PiPS5_21rocsparse_index_base_SD_SD_b
; %bb.0:
	s_load_dwordx4 s[8:11], s[4:5], 0x68
	s_load_dwordx2 s[14:15], s[4:5], 0x10
	s_load_dwordx2 s[12:13], s[4:5], 0x30
	s_waitcnt lgkmcnt(0)
	s_bitcmp1_b32 s11, 0
	s_cselect_b64 s[0:1], -1, 0
	s_xor_b64 s[16:17], s[0:1], -1
	s_and_b64 vcc, exec, s[0:1]
	s_mov_b32 s2, s14
	s_cbranch_vccnz .LBB22_2
; %bb.1:
	s_load_dword s2, s[14:15], 0x0
.LBB22_2:
	v_cndmask_b32_e64 v1, 0, 1, s[16:17]
	v_cmp_ne_u32_e64 s[0:1], 1, v1
	s_andn2_b64 vcc, exec, s[16:17]
	s_mov_b32 s3, s15
	s_cbranch_vccnz .LBB22_4
; %bb.3:
	s_load_dword s3, s[14:15], 0x4
.LBB22_4:
	s_load_dwordx2 s[20:21], s[4:5], 0x18
	s_nop 0
	s_load_dwordx2 s[14:15], s[4:5], 0x50
	s_load_dwordx2 s[22:23], s[4:5], 0x38
	s_and_b64 vcc, exec, s[0:1]
	s_mov_b32 s16, s12
	s_cbranch_vccnz .LBB22_6
; %bb.5:
	s_load_dword s16, s[12:13], 0x0
.LBB22_6:
	s_load_dwordx2 s[18:19], s[4:5], 0x20
	s_and_b64 vcc, exec, s[0:1]
	s_mov_b32 s17, s13
	s_cbranch_vccnz .LBB22_8
; %bb.7:
	s_load_dword s17, s[12:13], 0x4
.LBB22_8:
	s_ashr_i32 s7, s6, 31
	s_lshl_b64 s[12:13], s[6:7], 2
	s_waitcnt lgkmcnt(0)
	s_add_u32 s24, s20, s12
	s_addc_u32 s25, s21, s13
	s_load_dwordx2 s[0:1], s[24:25], 0x0
	s_load_dwordx2 s[6:7], s[4:5], 0x40
	;; [unrolled: 1-line block ×3, first 2 shown]
	s_waitcnt lgkmcnt(0)
	s_sub_i32 s38, s0, s8
	s_add_u32 s22, s22, s12
	s_addc_u32 s23, s23, s13
	s_load_dwordx2 s[26:27], s[22:23], 0x0
	s_add_u32 s28, s14, s12
	s_addc_u32 s29, s15, s13
	s_cmp_ge_i32 s0, s1
	s_mov_b32 s0, s20
	s_cbranch_scc1 .LBB22_10
; %bb.9:
	s_ashr_i32 s39, s38, 31
	s_lshl_b64 s[12:13], s[38:39], 2
	s_add_u32 s12, s18, s12
	s_addc_u32 s13, s19, s13
	s_load_dword s0, s[12:13], 0x0
	s_waitcnt lgkmcnt(0)
	s_sub_i32 s0, s0, s8
.LBB22_10:
	s_load_dwordx4 s[12:15], s[4:5], 0x58
	s_load_dwordx2 s[22:23], s[4:5], 0x28
	s_load_dwordx2 s[24:25], s[4:5], 0x48
	s_load_dword s30, s[28:29], 0x0
	s_waitcnt lgkmcnt(0)
	s_sub_i32 s40, s26, s9
	s_cmp_ge_i32 s26, s27
	s_mov_b32 s28, s20
	s_cbranch_scc1 .LBB22_12
; %bb.11:
	s_ashr_i32 s41, s40, 31
	s_lshl_b64 s[28:29], s[40:41], 2
	s_add_u32 s28, s6, s28
	s_addc_u32 s29, s7, s29
	s_load_dword s11, s[28:29], 0x0
	s_waitcnt lgkmcnt(0)
	s_sub_i32 s28, s11, s9
.LBB22_12:
	s_sub_i32 s33, s27, s9
	s_load_dword s27, s[4:5], 0x0
	v_and_b32_e32 v2, 15, v0
	v_lshrrev_b32_e32 v4, 4, v0
	s_sub_i32 s11, s1, s8
	s_min_i32 s39, s28, s0
	v_cmp_gt_u32_e32 vcc, s21, v2
	v_cmp_gt_i32_e64 s[0:1], s21, v4
	s_sub_i32 s26, s30, s10
	s_and_b64 s[4:5], vcc, s[0:1]
	v_lshlrev_b32_e32 v1, 3, v0
	s_waitcnt lgkmcnt(0)
	s_cmp_eq_u32 s27, 0
	v_lshlrev_b32_e32 v0, 3, v4
	s_cselect_b64 vcc, -1, 0
	s_cmp_lg_u32 s27, 0
	v_lshl_or_b32 v3, v2, 7, v0
	v_mov_b32_e32 v11, 0
	s_cselect_b64 s[28:29], -1, 0
	s_xor_b32 s30, s3, 0x80000000
	s_xor_b32 s34, s17, 0x80000000
	v_cndmask_b32_e32 v5, v2, v4, vcc
	v_cndmask_b32_e32 v0, v4, v2, vcc
	v_cndmask_b32_e32 v20, v3, v1, vcc
	s_mov_b32 s31, s2
	s_mov_b32 s35, s16
	s_mul_i32 s48, s21, s21
	s_mov_b64 s[36:37], 0
	v_mov_b32_e32 v22, s39
	v_mov_b32_e32 v6, s40
	;; [unrolled: 1-line block ×6, first 2 shown]
	s_branch .LBB22_15
.LBB22_13:                              ;   in Loop: Header=BB22_15 Depth=1
	s_or_b64 exec, exec, s[0:1]
.LBB22_14:                              ;   in Loop: Header=BB22_15 Depth=1
	s_barrier
	ds_read_b32 v7, v11 offset:2048
	v_cmp_le_i32_e32 vcc, s20, v9
	v_mov_b32_e32 v22, v9
	s_waitcnt lgkmcnt(0)
	s_barrier
	v_readfirstlane_b32 s0, v7
	s_add_i32 s26, s0, s26
	s_or_b64 s[36:37], vcc, s[36:37]
	s_andn2_b64 exec, exec, s[36:37]
	s_cbranch_execz .LBB22_48
.LBB22_15:                              ; =>This Loop Header: Depth=1
                                        ;     Child Loop BB22_18 Depth 2
                                        ;     Child Loop BB22_33 Depth 2
	v_cmp_gt_i32_e32 vcc, s11, v8
	v_mov_b32_e32 v9, s20
	ds_write_b32 v11, v11 offset:2048
	ds_write_b64 v1, v[12:13]
	s_waitcnt lgkmcnt(0)
	s_barrier
	s_and_saveexec_b64 s[38:39], vcc
	s_cbranch_execz .LBB22_30
; %bb.16:                               ;   in Loop: Header=BB22_15 Depth=1
	v_mul_lo_u32 v7, s21, v8
	v_add_u32_e32 v9, v4, v7
	v_mad_u64_u32 v[14:15], s[0:1], s21, v9, v[2:3]
	v_ashrrev_i32_e32 v9, 31, v8
	v_add_u32_e32 v7, v2, v7
	v_lshlrev_b64 v[18:19], 2, v[8:9]
	v_mad_u64_u32 v[16:17], s[0:1], s21, v7, v[4:5]
	v_mov_b32_e32 v7, s19
	v_add_co_u32_e32 v18, vcc, s18, v18
	v_addc_co_u32_e32 v19, vcc, v7, v19, vcc
	s_mov_b32 s27, 0
	s_mov_b64 s[40:41], 0
	v_mov_b32_e32 v9, s20
	s_branch .LBB22_18
.LBB22_17:                              ;   in Loop: Header=BB22_18 Depth=2
	s_or_b64 exec, exec, s[44:45]
	s_and_b64 s[0:1], exec, s[42:43]
	s_or_b64 s[40:41], s[0:1], s[40:41]
	s_andn2_b64 exec, exec, s[40:41]
	s_cbranch_execz .LBB22_29
.LBB22_18:                              ;   Parent Loop BB22_15 Depth=1
                                        ; =>  This Inner Loop Header: Depth=2
	global_load_dword v7, v[18:19], off
	s_waitcnt vmcnt(0)
	v_subrev_u32_e32 v7, s8, v7
	v_cmp_eq_u32_e64 s[0:1], v7, v22
	v_cmp_ne_u32_e32 vcc, v7, v22
	s_and_saveexec_b64 s[42:43], vcc
	s_xor_b64 s[42:43], exec, s[42:43]
	s_cbranch_execnz .LBB22_21
; %bb.19:                               ;   in Loop: Header=BB22_18 Depth=2
	s_andn2_saveexec_b64 s[42:43], s[42:43]
	s_cbranch_execnz .LBB22_22
.LBB22_20:                              ;   in Loop: Header=BB22_18 Depth=2
	s_or_b64 exec, exec, s[42:43]
	s_mov_b64 s[42:43], -1
	s_and_saveexec_b64 s[44:45], s[0:1]
	s_cbranch_execz .LBB22_17
	s_branch .LBB22_28
.LBB22_21:                              ;   in Loop: Header=BB22_18 Depth=2
	v_min_i32_e32 v9, v7, v9
	s_andn2_saveexec_b64 s[42:43], s[42:43]
	s_cbranch_execz .LBB22_20
.LBB22_22:                              ;   in Loop: Header=BB22_18 Depth=2
	ds_write_b32 v11, v21 offset:2048
	s_and_saveexec_b64 s[44:45], s[4:5]
	s_cbranch_execz .LBB22_27
; %bb.23:                               ;   in Loop: Header=BB22_18 Depth=2
	s_and_b64 vcc, exec, s[28:29]
	s_cbranch_vccz .LBB22_25
; %bb.24:                               ;   in Loop: Header=BB22_18 Depth=2
	v_add_u32_e32 v10, s27, v16
	v_lshlrev_b64 v[24:25], 3, v[10:11]
	v_mov_b32_e32 v7, s23
	v_add_co_u32_e32 v24, vcc, s22, v24
	v_addc_co_u32_e32 v25, vcc, v7, v25, vcc
	global_load_dwordx2 v[24:25], v[24:25], off
	s_waitcnt vmcnt(0)
	v_pk_mul_f32 v[26:27], v[24:25], s[30:31] op_sel:[1,0]
	v_pk_fma_f32 v[24:25], s[2:3], v[24:25], v[26:27] op_sel_hi:[1,0,1]
	ds_write_b64 v3, v[24:25]
	s_cbranch_execz .LBB22_26
	s_branch .LBB22_27
.LBB22_25:                              ;   in Loop: Header=BB22_18 Depth=2
.LBB22_26:                              ;   in Loop: Header=BB22_18 Depth=2
	v_add_u32_e32 v10, s27, v14
	v_lshlrev_b64 v[24:25], 3, v[10:11]
	v_mov_b32_e32 v7, s23
	v_add_co_u32_e32 v24, vcc, s22, v24
	v_addc_co_u32_e32 v25, vcc, v7, v25, vcc
	global_load_dwordx2 v[24:25], v[24:25], off
	s_waitcnt vmcnt(0)
	v_pk_mul_f32 v[26:27], v[24:25], s[30:31] op_sel:[1,0]
	v_pk_fma_f32 v[24:25], s[2:3], v[24:25], v[26:27] op_sel_hi:[1,0,1]
	ds_write_b64 v1, v[24:25]
.LBB22_27:                              ;   in Loop: Header=BB22_18 Depth=2
	s_or_b64 exec, exec, s[44:45]
	s_or_b64 exec, exec, s[42:43]
	s_mov_b64 s[42:43], -1
	s_and_saveexec_b64 s[44:45], s[0:1]
	s_cbranch_execz .LBB22_17
.LBB22_28:                              ;   in Loop: Header=BB22_18 Depth=2
	v_add_co_u32_e32 v18, vcc, 4, v18
	v_add_u32_e32 v8, 1, v8
	v_addc_co_u32_e32 v19, vcc, 0, v19, vcc
	v_cmp_le_i32_e32 vcc, s11, v8
	s_add_i32 s27, s27, s48
	s_orn2_b64 s[42:43], vcc, exec
	s_branch .LBB22_17
.LBB22_29:                              ;   in Loop: Header=BB22_15 Depth=1
	s_or_b64 exec, exec, s[40:41]
.LBB22_30:                              ;   in Loop: Header=BB22_15 Depth=1
	s_or_b64 exec, exec, s[38:39]
	v_cmp_gt_i32_e32 vcc, s33, v6
	s_waitcnt lgkmcnt(0)
	s_barrier
	s_and_saveexec_b64 s[38:39], vcc
	s_cbranch_execz .LBB22_45
; %bb.31:                               ;   in Loop: Header=BB22_15 Depth=1
	v_mul_lo_u32 v7, s21, v6
	v_add_u32_e32 v10, v4, v7
	v_add_u32_e32 v7, v2, v7
	v_mad_u64_u32 v[16:17], s[0:1], s21, v7, v[4:5]
	v_ashrrev_i32_e32 v7, 31, v6
	v_lshlrev_b64 v[18:19], 2, v[6:7]
	v_mov_b32_e32 v7, s7
	v_add_co_u32_e32 v18, vcc, s6, v18
	v_mad_u64_u32 v[14:15], s[0:1], s21, v10, v[2:3]
	v_addc_co_u32_e32 v19, vcc, v7, v19, vcc
	s_mov_b32 s27, 0
	s_mov_b64 s[40:41], 0
	s_branch .LBB22_33
.LBB22_32:                              ;   in Loop: Header=BB22_33 Depth=2
	s_or_b64 exec, exec, s[44:45]
	s_and_b64 s[0:1], exec, s[42:43]
	s_or_b64 s[40:41], s[0:1], s[40:41]
	s_andn2_b64 exec, exec, s[40:41]
	s_cbranch_execz .LBB22_44
.LBB22_33:                              ;   Parent Loop BB22_15 Depth=1
                                        ; =>  This Inner Loop Header: Depth=2
	global_load_dword v7, v[18:19], off
	s_waitcnt vmcnt(0)
	v_subrev_u32_e32 v7, s9, v7
	v_cmp_eq_u32_e64 s[0:1], v7, v22
	v_cmp_ne_u32_e32 vcc, v7, v22
	s_and_saveexec_b64 s[42:43], vcc
	s_xor_b64 s[42:43], exec, s[42:43]
	s_cbranch_execnz .LBB22_36
; %bb.34:                               ;   in Loop: Header=BB22_33 Depth=2
	s_andn2_saveexec_b64 s[42:43], s[42:43]
	s_cbranch_execnz .LBB22_37
.LBB22_35:                              ;   in Loop: Header=BB22_33 Depth=2
	s_or_b64 exec, exec, s[42:43]
	s_mov_b64 s[42:43], -1
	s_and_saveexec_b64 s[44:45], s[0:1]
	s_cbranch_execz .LBB22_32
	s_branch .LBB22_43
.LBB22_36:                              ;   in Loop: Header=BB22_33 Depth=2
	v_min_i32_e32 v9, v7, v9
	s_andn2_saveexec_b64 s[42:43], s[42:43]
	s_cbranch_execz .LBB22_35
.LBB22_37:                              ;   in Loop: Header=BB22_33 Depth=2
	ds_write_b32 v11, v21 offset:2048
	s_and_saveexec_b64 s[44:45], s[4:5]
	s_cbranch_execz .LBB22_42
; %bb.38:                               ;   in Loop: Header=BB22_33 Depth=2
	s_and_b64 vcc, exec, s[28:29]
	s_cbranch_vccz .LBB22_40
; %bb.39:                               ;   in Loop: Header=BB22_33 Depth=2
	v_add_u32_e32 v10, s27, v16
	v_lshlrev_b64 v[24:25], 3, v[10:11]
	v_mov_b32_e32 v7, s25
	v_add_co_u32_e32 v24, vcc, s24, v24
	v_addc_co_u32_e32 v25, vcc, v7, v25, vcc
	global_load_dwordx2 v[24:25], v[24:25], off
	ds_read_b64 v[26:27], v3
	s_waitcnt vmcnt(0) lgkmcnt(0)
	v_pk_fma_f32 v[26:27], s[16:17], v[24:25], v[26:27] op_sel_hi:[1,0,1]
	v_pk_fma_f32 v[24:25], s[34:35], v[24:25], v[26:27] op_sel:[0,1,0]
	ds_write_b64 v3, v[24:25]
	s_cbranch_execz .LBB22_41
	s_branch .LBB22_42
.LBB22_40:                              ;   in Loop: Header=BB22_33 Depth=2
.LBB22_41:                              ;   in Loop: Header=BB22_33 Depth=2
	v_add_u32_e32 v10, s27, v14
	v_lshlrev_b64 v[24:25], 3, v[10:11]
	v_mov_b32_e32 v7, s25
	v_add_co_u32_e32 v24, vcc, s24, v24
	v_addc_co_u32_e32 v25, vcc, v7, v25, vcc
	global_load_dwordx2 v[24:25], v[24:25], off
	ds_read_b64 v[26:27], v1
	s_waitcnt vmcnt(0) lgkmcnt(0)
	v_pk_fma_f32 v[26:27], s[16:17], v[24:25], v[26:27] op_sel_hi:[1,0,1]
	v_pk_fma_f32 v[24:25], s[34:35], v[24:25], v[26:27] op_sel:[0,1,0]
	ds_write_b64 v1, v[24:25]
.LBB22_42:                              ;   in Loop: Header=BB22_33 Depth=2
	s_or_b64 exec, exec, s[44:45]
	s_or_b64 exec, exec, s[42:43]
	s_mov_b64 s[42:43], -1
	s_and_saveexec_b64 s[44:45], s[0:1]
	s_cbranch_execz .LBB22_32
.LBB22_43:                              ;   in Loop: Header=BB22_33 Depth=2
	v_add_co_u32_e32 v18, vcc, 4, v18
	v_add_u32_e32 v6, 1, v6
	v_addc_co_u32_e32 v19, vcc, 0, v19, vcc
	v_cmp_le_i32_e32 vcc, s33, v6
	s_add_i32 s27, s27, s48
	s_orn2_b64 s[42:43], vcc, exec
	s_branch .LBB22_32
.LBB22_44:                              ;   in Loop: Header=BB22_15 Depth=1
	s_or_b64 exec, exec, s[40:41]
.LBB22_45:                              ;   in Loop: Header=BB22_15 Depth=1
	s_or_b64 exec, exec, s[38:39]
	s_waitcnt lgkmcnt(0)
	s_barrier
	ds_read_b32 v7, v11 offset:2048
	s_waitcnt lgkmcnt(0)
	v_cmp_eq_u32_e32 vcc, 0, v7
	s_cbranch_vccnz .LBB22_14
; %bb.46:                               ;   in Loop: Header=BB22_15 Depth=1
	s_ashr_i32 s27, s26, 31
	s_lshl_b64 s[0:1], s[26:27], 2
	s_add_u32 s0, s12, s0
	v_add_u32_e32 v7, s10, v22
	s_addc_u32 s1, s13, s1
	global_store_dword v11, v7, s[0:1]
	s_and_saveexec_b64 s[0:1], s[4:5]
	s_cbranch_execz .LBB22_13
; %bb.47:                               ;   in Loop: Header=BB22_15 Depth=1
	s_mul_i32 s27, s26, s21
	v_add_u32_e32 v7, s27, v5
	v_mad_u64_u32 v[14:15], s[38:39], v7, s21, v[0:1]
	ds_read_b64 v[16:17], v20
	v_mov_b32_e32 v15, v11
	v_lshlrev_b64 v[14:15], 3, v[14:15]
	v_mov_b32_e32 v7, s15
	v_add_co_u32_e32 v14, vcc, s14, v14
	v_addc_co_u32_e32 v15, vcc, v7, v15, vcc
	s_waitcnt lgkmcnt(0)
	global_store_dwordx2 v[14:15], v[16:17], off
	s_branch .LBB22_13
.LBB22_48:
	s_endpgm
	.section	.rodata,"a",@progbits
	.p2align	6, 0x0
	.amdhsa_kernel _ZN9rocsparseL39bsrgeam_block_per_row_multipass_kernel2ILj256ELj16E21rocsparse_complex_numIfEEEv20rocsparse_direction_iiiNS_24const_host_device_scalarIT1_EEPKiS8_PKS5_S6_S8_S8_SA_S8_PiPS5_21rocsparse_index_base_SD_SD_b
		.amdhsa_group_segment_fixed_size 2052
		.amdhsa_private_segment_fixed_size 0
		.amdhsa_kernarg_size 120
		.amdhsa_user_sgpr_count 6
		.amdhsa_user_sgpr_private_segment_buffer 1
		.amdhsa_user_sgpr_dispatch_ptr 0
		.amdhsa_user_sgpr_queue_ptr 0
		.amdhsa_user_sgpr_kernarg_segment_ptr 1
		.amdhsa_user_sgpr_dispatch_id 0
		.amdhsa_user_sgpr_flat_scratch_init 0
		.amdhsa_user_sgpr_kernarg_preload_length 0
		.amdhsa_user_sgpr_kernarg_preload_offset 0
		.amdhsa_user_sgpr_private_segment_size 0
		.amdhsa_uses_dynamic_stack 0
		.amdhsa_system_sgpr_private_segment_wavefront_offset 0
		.amdhsa_system_sgpr_workgroup_id_x 1
		.amdhsa_system_sgpr_workgroup_id_y 0
		.amdhsa_system_sgpr_workgroup_id_z 0
		.amdhsa_system_sgpr_workgroup_info 0
		.amdhsa_system_vgpr_workitem_id 0
		.amdhsa_next_free_vgpr 28
		.amdhsa_next_free_sgpr 49
		.amdhsa_accum_offset 28
		.amdhsa_reserve_vcc 1
		.amdhsa_reserve_flat_scratch 0
		.amdhsa_float_round_mode_32 0
		.amdhsa_float_round_mode_16_64 0
		.amdhsa_float_denorm_mode_32 3
		.amdhsa_float_denorm_mode_16_64 3
		.amdhsa_dx10_clamp 1
		.amdhsa_ieee_mode 1
		.amdhsa_fp16_overflow 0
		.amdhsa_tg_split 0
		.amdhsa_exception_fp_ieee_invalid_op 0
		.amdhsa_exception_fp_denorm_src 0
		.amdhsa_exception_fp_ieee_div_zero 0
		.amdhsa_exception_fp_ieee_overflow 0
		.amdhsa_exception_fp_ieee_underflow 0
		.amdhsa_exception_fp_ieee_inexact 0
		.amdhsa_exception_int_div_zero 0
	.end_amdhsa_kernel
	.section	.text._ZN9rocsparseL39bsrgeam_block_per_row_multipass_kernel2ILj256ELj16E21rocsparse_complex_numIfEEEv20rocsparse_direction_iiiNS_24const_host_device_scalarIT1_EEPKiS8_PKS5_S6_S8_S8_SA_S8_PiPS5_21rocsparse_index_base_SD_SD_b,"axG",@progbits,_ZN9rocsparseL39bsrgeam_block_per_row_multipass_kernel2ILj256ELj16E21rocsparse_complex_numIfEEEv20rocsparse_direction_iiiNS_24const_host_device_scalarIT1_EEPKiS8_PKS5_S6_S8_S8_SA_S8_PiPS5_21rocsparse_index_base_SD_SD_b,comdat
.Lfunc_end22:
	.size	_ZN9rocsparseL39bsrgeam_block_per_row_multipass_kernel2ILj256ELj16E21rocsparse_complex_numIfEEEv20rocsparse_direction_iiiNS_24const_host_device_scalarIT1_EEPKiS8_PKS5_S6_S8_S8_SA_S8_PiPS5_21rocsparse_index_base_SD_SD_b, .Lfunc_end22-_ZN9rocsparseL39bsrgeam_block_per_row_multipass_kernel2ILj256ELj16E21rocsparse_complex_numIfEEEv20rocsparse_direction_iiiNS_24const_host_device_scalarIT1_EEPKiS8_PKS5_S6_S8_S8_SA_S8_PiPS5_21rocsparse_index_base_SD_SD_b
                                        ; -- End function
	.section	.AMDGPU.csdata,"",@progbits
; Kernel info:
; codeLenInByte = 1552
; NumSgprs: 53
; NumVgprs: 28
; NumAgprs: 0
; TotalNumVgprs: 28
; ScratchSize: 0
; MemoryBound: 0
; FloatMode: 240
; IeeeMode: 1
; LDSByteSize: 2052 bytes/workgroup (compile time only)
; SGPRBlocks: 6
; VGPRBlocks: 3
; NumSGPRsForWavesPerEU: 53
; NumVGPRsForWavesPerEU: 28
; AccumOffset: 28
; Occupancy: 8
; WaveLimiterHint : 1
; COMPUTE_PGM_RSRC2:SCRATCH_EN: 0
; COMPUTE_PGM_RSRC2:USER_SGPR: 6
; COMPUTE_PGM_RSRC2:TRAP_HANDLER: 0
; COMPUTE_PGM_RSRC2:TGID_X_EN: 1
; COMPUTE_PGM_RSRC2:TGID_Y_EN: 0
; COMPUTE_PGM_RSRC2:TGID_Z_EN: 0
; COMPUTE_PGM_RSRC2:TIDIG_COMP_CNT: 0
; COMPUTE_PGM_RSRC3_GFX90A:ACCUM_OFFSET: 6
; COMPUTE_PGM_RSRC3_GFX90A:TG_SPLIT: 0
	.section	.text._ZN9rocsparseL39bsrgeam_block_per_row_multipass_kernel2ILj256ELj32E21rocsparse_complex_numIfEEEv20rocsparse_direction_iiiNS_24const_host_device_scalarIT1_EEPKiS8_PKS5_S6_S8_S8_SA_S8_PiPS5_21rocsparse_index_base_SD_SD_b,"axG",@progbits,_ZN9rocsparseL39bsrgeam_block_per_row_multipass_kernel2ILj256ELj32E21rocsparse_complex_numIfEEEv20rocsparse_direction_iiiNS_24const_host_device_scalarIT1_EEPKiS8_PKS5_S6_S8_S8_SA_S8_PiPS5_21rocsparse_index_base_SD_SD_b,comdat
	.globl	_ZN9rocsparseL39bsrgeam_block_per_row_multipass_kernel2ILj256ELj32E21rocsparse_complex_numIfEEEv20rocsparse_direction_iiiNS_24const_host_device_scalarIT1_EEPKiS8_PKS5_S6_S8_S8_SA_S8_PiPS5_21rocsparse_index_base_SD_SD_b ; -- Begin function _ZN9rocsparseL39bsrgeam_block_per_row_multipass_kernel2ILj256ELj32E21rocsparse_complex_numIfEEEv20rocsparse_direction_iiiNS_24const_host_device_scalarIT1_EEPKiS8_PKS5_S6_S8_S8_SA_S8_PiPS5_21rocsparse_index_base_SD_SD_b
	.p2align	8
	.type	_ZN9rocsparseL39bsrgeam_block_per_row_multipass_kernel2ILj256ELj32E21rocsparse_complex_numIfEEEv20rocsparse_direction_iiiNS_24const_host_device_scalarIT1_EEPKiS8_PKS5_S6_S8_S8_SA_S8_PiPS5_21rocsparse_index_base_SD_SD_b,@function
_ZN9rocsparseL39bsrgeam_block_per_row_multipass_kernel2ILj256ELj32E21rocsparse_complex_numIfEEEv20rocsparse_direction_iiiNS_24const_host_device_scalarIT1_EEPKiS8_PKS5_S6_S8_S8_SA_S8_PiPS5_21rocsparse_index_base_SD_SD_b: ; @_ZN9rocsparseL39bsrgeam_block_per_row_multipass_kernel2ILj256ELj32E21rocsparse_complex_numIfEEEv20rocsparse_direction_iiiNS_24const_host_device_scalarIT1_EEPKiS8_PKS5_S6_S8_S8_SA_S8_PiPS5_21rocsparse_index_base_SD_SD_b
; %bb.0:
	s_load_dwordx4 s[8:11], s[4:5], 0x68
	s_load_dwordx2 s[14:15], s[4:5], 0x10
	s_load_dwordx2 s[12:13], s[4:5], 0x30
	s_waitcnt lgkmcnt(0)
	s_bitcmp1_b32 s11, 0
	s_cselect_b64 s[0:1], -1, 0
	s_xor_b64 s[16:17], s[0:1], -1
	s_and_b64 vcc, exec, s[0:1]
	s_mov_b32 s2, s14
	s_cbranch_vccnz .LBB23_2
; %bb.1:
	s_load_dword s2, s[14:15], 0x0
.LBB23_2:
	v_cndmask_b32_e64 v1, 0, 1, s[16:17]
	v_cmp_ne_u32_e64 s[0:1], 1, v1
	s_andn2_b64 vcc, exec, s[16:17]
	s_mov_b32 s3, s15
	s_cbranch_vccnz .LBB23_4
; %bb.3:
	s_load_dword s3, s[14:15], 0x4
.LBB23_4:
	s_load_dwordx2 s[20:21], s[4:5], 0x18
	s_nop 0
	s_load_dwordx2 s[14:15], s[4:5], 0x50
	s_load_dwordx2 s[24:25], s[4:5], 0x38
	s_and_b64 vcc, exec, s[0:1]
	s_mov_b32 s16, s12
	s_cbranch_vccnz .LBB23_6
; %bb.5:
	s_load_dword s16, s[12:13], 0x0
.LBB23_6:
	s_load_dwordx2 s[18:19], s[4:5], 0x20
	s_and_b64 vcc, exec, s[0:1]
	s_mov_b32 s17, s13
	s_cbranch_vccnz .LBB23_8
; %bb.7:
	s_load_dword s17, s[12:13], 0x4
.LBB23_8:
	s_ashr_i32 s7, s6, 31
	s_lshl_b64 s[12:13], s[6:7], 2
	s_waitcnt lgkmcnt(0)
	s_add_u32 s22, s20, s12
	s_addc_u32 s23, s21, s13
	s_load_dwordx2 s[0:1], s[22:23], 0x0
	s_load_dwordx2 s[6:7], s[4:5], 0x40
	;; [unrolled: 1-line block ×3, first 2 shown]
	s_waitcnt lgkmcnt(0)
	s_sub_i32 s22, s0, s8
	s_add_u32 s24, s24, s12
	s_addc_u32 s25, s25, s13
	s_load_dwordx2 s[30:31], s[24:25], 0x0
	s_add_u32 s28, s14, s12
	s_addc_u32 s29, s15, s13
	s_cmp_ge_i32 s0, s1
	s_mov_b32 s0, s20
	s_cbranch_scc1 .LBB23_10
; %bb.9:
	s_ashr_i32 s23, s22, 31
	s_lshl_b64 s[12:13], s[22:23], 2
	s_add_u32 s12, s18, s12
	s_addc_u32 s13, s19, s13
	s_load_dword s0, s[12:13], 0x0
	s_waitcnt lgkmcnt(0)
	s_sub_i32 s0, s0, s8
.LBB23_10:
	s_load_dwordx4 s[12:15], s[4:5], 0x58
	s_load_dwordx2 s[24:25], s[4:5], 0x28
	s_load_dwordx2 s[26:27], s[4:5], 0x48
	s_load_dword s23, s[28:29], 0x0
	s_waitcnt lgkmcnt(0)
	s_sub_i32 s28, s30, s9
	s_cmp_ge_i32 s30, s31
	s_mov_b32 s29, s20
	s_cbranch_scc1 .LBB23_12
; %bb.11:
	s_ashr_i32 s29, s28, 31
	s_lshl_b64 s[34:35], s[28:29], 2
	s_add_u32 s34, s6, s34
	s_addc_u32 s35, s7, s35
	s_load_dword s11, s[34:35], 0x0
	s_waitcnt lgkmcnt(0)
	s_sub_i32 s29, s11, s9
.LBB23_12:
	s_sub_i32 s11, s1, s8
	s_load_dword s1, s[4:5], 0x0
	v_and_b32_e32 v1, 7, v0
	v_lshrrev_b32_e32 v0, 3, v0
	s_sub_i32 s33, s31, s9
	s_sub_i32 s30, s23, s10
	s_min_i32 s31, s29, s0
	v_cmp_gt_i32_e32 vcc, s21, v0
	s_waitcnt lgkmcnt(0)
	s_cmp_lg_u32 s1, 0
	v_cmp_gt_u32_e64 s[0:1], s21, v1
	v_or_b32_e32 v9, 8, v1
	s_cselect_b64 s[4:5], -1, 0
	s_and_b64 s[38:39], vcc, s[0:1]
	v_cmp_gt_u32_e64 s[0:1], s21, v9
	v_or_b32_e32 v12, 16, v1
	v_lshlrev_b32_e32 v2, 5, v0
	s_mov_b32 s46, 0
	s_and_b64 s[40:41], vcc, s[0:1]
	v_cmp_gt_u32_e64 s[0:1], s21, v12
	v_or_b32_e32 v15, 24, v1
	v_or_b32_e32 v6, v2, v1
	;; [unrolled: 1-line block ×3, first 2 shown]
	s_and_b64 s[42:43], vcc, s[0:1]
	v_or_b32_e32 v14, v12, v2
	v_cmp_gt_u32_e64 s[0:1], s21, v15
	v_or_b32_e32 v17, v15, v2
	s_mov_b32 s47, s46
	v_cndmask_b32_e64 v2, 0, 1, s[4:5]
	s_xor_b32 s34, s3, 0x80000000
	s_xor_b32 s36, s17, 0x80000000
	v_lshlrev_b32_e32 v7, 3, v6
	v_lshl_or_b32 v8, v1, 5, v0
	v_lshl_or_b32 v10, v9, 5, v0
	;; [unrolled: 1-line block ×3, first 2 shown]
	s_and_b64 s[44:45], vcc, s[0:1]
	v_lshl_or_b32 v16, v15, 5, v0
	s_mov_b32 s35, s2
	s_mov_b32 s37, s16
	s_mul_i32 s54, s21, s21
	v_mov_b32_e32 v3, 0
	v_pk_mov_b32 v[4:5], s[46:47], s[46:47] op_sel:[0,1]
	v_mov_b32_e32 v18, 1
	v_cmp_ne_u32_e64 s[0:1], 1, v2
	s_branch .LBB23_16
.LBB23_13:                              ;   in Loop: Header=BB23_16 Depth=1
	v_lshlrev_b32_e32 v19, 3, v20
	ds_read_b64 v[22:23], v19
	v_lshlrev_b64 v[20:21], 3, v[2:3]
	v_mov_b32_e32 v2, s15
	v_add_co_u32_e32 v20, vcc, s14, v20
	v_addc_co_u32_e32 v21, vcc, v2, v21, vcc
	s_waitcnt lgkmcnt(0)
	global_store_dwordx2 v[20:21], v[22:23], off
.LBB23_14:                              ;   in Loop: Header=BB23_16 Depth=1
	s_or_b64 exec, exec, s[46:47]
.LBB23_15:                              ;   in Loop: Header=BB23_16 Depth=1
	s_barrier
	ds_read_b32 v2, v3 offset:8192
	s_mov_b32 s31, s29
	s_waitcnt lgkmcnt(0)
	s_barrier
	v_readfirstlane_b32 s23, v2
	s_add_i32 s30, s23, s30
	s_cmp_lt_i32 s29, s20
	s_cbranch_scc0 .LBB23_108
.LBB23_16:                              ; =>This Loop Header: Depth=1
                                        ;     Child Loop BB23_19 Depth 2
                                        ;     Child Loop BB23_53 Depth 2
	s_cmp_ge_i32 s22, s11
	ds_write_b32 v3, v3 offset:8192
	ds_write2_b64 v7, v[4:5], v[4:5] offset1:8
	ds_write2_b64 v7, v[4:5], v[4:5] offset0:16 offset1:24
	s_waitcnt lgkmcnt(0)
	s_barrier
	s_cbranch_scc1 .LBB23_49
; %bb.17:                               ;   in Loop: Header=BB23_16 Depth=1
	s_mul_i32 s23, s21, s22
	v_add_u32_e32 v2, s23, v1
	v_mul_lo_u32 v19, s21, v2
	v_add_u32_e32 v2, s23, v9
	v_mul_lo_u32 v20, s21, v2
	;; [unrolled: 2-line block ×3, first 2 shown]
	v_add_u32_e32 v2, s23, v15
	s_ashr_i32 s23, s22, 31
	s_lshl_b64 s[46:47], s[22:23], 2
	s_add_u32 s46, s18, s46
	v_mul_lo_u32 v22, s21, v2
	s_addc_u32 s47, s19, s47
	v_mov_b32_e32 v23, v0
	s_mov_b32 s29, s20
	s_branch .LBB23_19
.LBB23_18:                              ;   in Loop: Header=BB23_19 Depth=2
	s_add_i32 s22, s22, 1
	s_add_u32 s46, s46, 4
	s_addc_u32 s47, s47, 0
	s_cmp_ge_i32 s22, s11
	v_add_u32_e32 v23, s54, v23
	s_cselect_b64 s[48:49], -1, 0
	s_andn2_b64 vcc, exec, s[48:49]
	s_mov_b32 s29, s23
	s_cbranch_vccz .LBB23_50
.LBB23_19:                              ;   Parent Loop BB23_16 Depth=1
                                        ; =>  This Inner Loop Header: Depth=2
	s_load_dword s23, s[46:47], 0x0
	s_mov_b64 s[50:51], -1
	s_waitcnt lgkmcnt(0)
	s_sub_i32 s52, s23, s8
	s_cmp_eq_u32 s52, s31
	s_cselect_b64 s[48:49], -1, 0
	s_cmp_lg_u32 s52, s31
                                        ; implicit-def: $sgpr23
	s_cbranch_scc1 .LBB23_22
; %bb.20:                               ;   in Loop: Header=BB23_19 Depth=2
	s_andn2_b64 vcc, exec, s[50:51]
	s_cbranch_vccz .LBB23_23
.LBB23_21:                              ;   in Loop: Header=BB23_19 Depth=2
	s_andn2_b64 vcc, exec, s[48:49]
	s_cbranch_vccz .LBB23_18
	s_branch .LBB23_44
.LBB23_22:                              ;   in Loop: Header=BB23_19 Depth=2
	s_min_i32 s23, s52, s29
	s_cbranch_execnz .LBB23_21
.LBB23_23:                              ;   in Loop: Header=BB23_19 Depth=2
	s_mul_i32 s23, s22, s21
	v_add_u32_e32 v2, s23, v0
	v_mul_lo_u32 v24, v2, s21
	ds_write_b32 v3, v18 offset:8192
	s_and_saveexec_b64 s[50:51], s[38:39]
	s_cbranch_execnz .LBB23_27
; %bb.24:                               ;   in Loop: Header=BB23_19 Depth=2
	s_or_b64 exec, exec, s[50:51]
	s_and_saveexec_b64 s[50:51], s[40:41]
	s_cbranch_execnz .LBB23_31
.LBB23_25:                              ;   in Loop: Header=BB23_19 Depth=2
	s_or_b64 exec, exec, s[50:51]
	s_and_saveexec_b64 s[50:51], s[42:43]
	s_cbranch_execnz .LBB23_35
.LBB23_26:                              ;   in Loop: Header=BB23_19 Depth=2
	s_or_b64 exec, exec, s[50:51]
	s_and_saveexec_b64 s[50:51], s[44:45]
	s_cbranch_execnz .LBB23_39
	s_branch .LBB23_43
.LBB23_27:                              ;   in Loop: Header=BB23_19 Depth=2
	s_and_b64 vcc, exec, s[4:5]
	s_cbranch_vccz .LBB23_45
; %bb.28:                               ;   in Loop: Header=BB23_19 Depth=2
	v_add_u32_e32 v2, v19, v23
	v_mov_b32_e32 v25, v8
	s_cbranch_execnz .LBB23_30
.LBB23_29:                              ;   in Loop: Header=BB23_19 Depth=2
	v_add_u32_e32 v2, v24, v1
	v_mov_b32_e32 v25, v6
.LBB23_30:                              ;   in Loop: Header=BB23_19 Depth=2
	v_lshlrev_b64 v[26:27], 3, v[2:3]
	v_mov_b32_e32 v2, s25
	v_add_co_u32_e32 v26, vcc, s24, v26
	v_addc_co_u32_e32 v27, vcc, v2, v27, vcc
	global_load_dwordx2 v[26:27], v[26:27], off
	v_lshlrev_b32_e32 v2, 3, v25
	s_waitcnt vmcnt(0)
	v_pk_mul_f32 v[28:29], v[26:27], s[34:35] op_sel:[1,0]
	v_pk_fma_f32 v[26:27], s[2:3], v[26:27], v[28:29] op_sel_hi:[1,0,1]
	ds_write_b64 v2, v[26:27]
	s_or_b64 exec, exec, s[50:51]
	s_and_saveexec_b64 s[50:51], s[40:41]
	s_cbranch_execz .LBB23_25
.LBB23_31:                              ;   in Loop: Header=BB23_19 Depth=2
	s_and_b64 vcc, exec, s[0:1]
	s_cbranch_vccnz .LBB23_46
; %bb.32:                               ;   in Loop: Header=BB23_19 Depth=2
	v_add_u32_e32 v2, v20, v23
	v_mov_b32_e32 v25, v10
	s_cbranch_execnz .LBB23_34
.LBB23_33:                              ;   in Loop: Header=BB23_19 Depth=2
	v_add_u32_e32 v2, v24, v9
	v_mov_b32_e32 v25, v11
.LBB23_34:                              ;   in Loop: Header=BB23_19 Depth=2
	v_lshlrev_b64 v[26:27], 3, v[2:3]
	v_mov_b32_e32 v2, s25
	v_add_co_u32_e32 v26, vcc, s24, v26
	v_addc_co_u32_e32 v27, vcc, v2, v27, vcc
	global_load_dwordx2 v[26:27], v[26:27], off
	v_lshlrev_b32_e32 v2, 3, v25
	s_waitcnt vmcnt(0)
	v_pk_mul_f32 v[28:29], v[26:27], s[34:35] op_sel:[1,0]
	v_pk_fma_f32 v[26:27], s[2:3], v[26:27], v[28:29] op_sel_hi:[1,0,1]
	ds_write_b64 v2, v[26:27]
	s_or_b64 exec, exec, s[50:51]
	s_and_saveexec_b64 s[50:51], s[42:43]
	s_cbranch_execz .LBB23_26
.LBB23_35:                              ;   in Loop: Header=BB23_19 Depth=2
	s_and_b64 vcc, exec, s[0:1]
	s_cbranch_vccnz .LBB23_47
; %bb.36:                               ;   in Loop: Header=BB23_19 Depth=2
	v_add_u32_e32 v2, v21, v23
	v_mov_b32_e32 v25, v13
	s_cbranch_execnz .LBB23_38
.LBB23_37:                              ;   in Loop: Header=BB23_19 Depth=2
	v_add_u32_e32 v2, v24, v12
	v_mov_b32_e32 v25, v14
.LBB23_38:                              ;   in Loop: Header=BB23_19 Depth=2
	v_lshlrev_b64 v[26:27], 3, v[2:3]
	v_mov_b32_e32 v2, s25
	v_add_co_u32_e32 v26, vcc, s24, v26
	v_addc_co_u32_e32 v27, vcc, v2, v27, vcc
	global_load_dwordx2 v[26:27], v[26:27], off
	v_lshlrev_b32_e32 v2, 3, v25
	s_waitcnt vmcnt(0)
	v_pk_mul_f32 v[28:29], v[26:27], s[34:35] op_sel:[1,0]
	v_pk_fma_f32 v[26:27], s[2:3], v[26:27], v[28:29] op_sel_hi:[1,0,1]
	ds_write_b64 v2, v[26:27]
	s_or_b64 exec, exec, s[50:51]
	s_and_saveexec_b64 s[50:51], s[44:45]
	s_cbranch_execz .LBB23_43
.LBB23_39:                              ;   in Loop: Header=BB23_19 Depth=2
	s_and_b64 vcc, exec, s[0:1]
	s_cbranch_vccnz .LBB23_48
; %bb.40:                               ;   in Loop: Header=BB23_19 Depth=2
	v_add_u32_e32 v2, v22, v23
	v_mov_b32_e32 v25, v16
	s_cbranch_execnz .LBB23_42
.LBB23_41:                              ;   in Loop: Header=BB23_19 Depth=2
	v_add_u32_e32 v2, v24, v15
	v_mov_b32_e32 v25, v17
.LBB23_42:                              ;   in Loop: Header=BB23_19 Depth=2
	v_lshlrev_b64 v[26:27], 3, v[2:3]
	v_mov_b32_e32 v2, s25
	v_add_co_u32_e32 v26, vcc, s24, v26
	v_addc_co_u32_e32 v27, vcc, v2, v27, vcc
	global_load_dwordx2 v[26:27], v[26:27], off
	v_lshlrev_b32_e32 v2, 3, v25
	s_waitcnt vmcnt(0)
	v_pk_mul_f32 v[24:25], v[26:27], s[34:35] op_sel:[1,0]
	v_pk_fma_f32 v[24:25], s[2:3], v[26:27], v[24:25] op_sel_hi:[1,0,1]
	ds_write_b64 v2, v[24:25]
.LBB23_43:                              ;   in Loop: Header=BB23_19 Depth=2
	s_or_b64 exec, exec, s[50:51]
	s_mov_b32 s23, s29
	s_andn2_b64 vcc, exec, s[48:49]
	s_cbranch_vccz .LBB23_18
.LBB23_44:                              ;   in Loop: Header=BB23_16 Depth=1
                                        ; implicit-def: $vgpr23
                                        ; implicit-def: $sgpr46_sgpr47
	s_mov_b32 s29, s23
	s_branch .LBB23_50
.LBB23_45:                              ;   in Loop: Header=BB23_19 Depth=2
	v_mov_b32_e32 v25, v8
	s_branch .LBB23_29
.LBB23_46:                              ;   in Loop: Header=BB23_19 Depth=2
	v_mov_b32_e32 v25, v10
	s_branch .LBB23_33
.LBB23_47:                              ;   in Loop: Header=BB23_19 Depth=2
	v_mov_b32_e32 v25, v13
	s_branch .LBB23_37
.LBB23_48:                              ;   in Loop: Header=BB23_19 Depth=2
	v_mov_b32_e32 v25, v16
	s_branch .LBB23_41
.LBB23_49:                              ;   in Loop: Header=BB23_16 Depth=1
	s_mov_b32 s23, s20
.LBB23_50:                              ;   in Loop: Header=BB23_16 Depth=1
	s_cmp_ge_i32 s28, s33
	s_waitcnt lgkmcnt(0)
	s_barrier
	s_cbranch_scc1 .LBB23_83
; %bb.51:                               ;   in Loop: Header=BB23_16 Depth=1
	s_mul_i32 s29, s21, s28
	v_add_u32_e32 v2, s29, v1
	v_mul_lo_u32 v19, s21, v2
	v_add_u32_e32 v2, s29, v9
	v_mul_lo_u32 v20, s21, v2
	;; [unrolled: 2-line block ×3, first 2 shown]
	v_add_u32_e32 v2, s29, v15
	s_ashr_i32 s29, s28, 31
	s_lshl_b64 s[46:47], s[28:29], 2
	s_add_u32 s46, s6, s46
	v_mul_lo_u32 v22, s21, v2
	s_addc_u32 s47, s7, s47
	v_mov_b32_e32 v23, v0
	s_branch .LBB23_53
.LBB23_52:                              ;   in Loop: Header=BB23_53 Depth=2
	s_add_i32 s28, s28, 1
	s_add_u32 s46, s46, 4
	s_addc_u32 s47, s47, 0
	s_cmp_ge_i32 s28, s33
	v_add_u32_e32 v23, s54, v23
	s_cselect_b64 s[48:49], -1, 0
	s_andn2_b64 vcc, exec, s[48:49]
	s_mov_b32 s23, s29
	s_cbranch_vccz .LBB23_84
.LBB23_53:                              ;   Parent Loop BB23_16 Depth=1
                                        ; =>  This Inner Loop Header: Depth=2
	s_load_dword s29, s[46:47], 0x0
	s_mov_b64 s[50:51], -1
	s_waitcnt lgkmcnt(0)
	s_sub_i32 s52, s29, s9
	s_cmp_eq_u32 s52, s31
	s_cselect_b64 s[48:49], -1, 0
	s_cmp_lg_u32 s52, s31
                                        ; implicit-def: $sgpr29
	s_cbranch_scc1 .LBB23_56
; %bb.54:                               ;   in Loop: Header=BB23_53 Depth=2
	s_andn2_b64 vcc, exec, s[50:51]
	s_cbranch_vccz .LBB23_57
.LBB23_55:                              ;   in Loop: Header=BB23_53 Depth=2
	s_andn2_b64 vcc, exec, s[48:49]
	s_cbranch_vccz .LBB23_52
	s_branch .LBB23_78
.LBB23_56:                              ;   in Loop: Header=BB23_53 Depth=2
	s_min_i32 s29, s52, s23
	s_cbranch_execnz .LBB23_55
.LBB23_57:                              ;   in Loop: Header=BB23_53 Depth=2
	s_mul_i32 s29, s28, s21
	v_add_u32_e32 v2, s29, v0
	v_mul_lo_u32 v24, v2, s21
	ds_write_b32 v3, v18 offset:8192
	s_and_saveexec_b64 s[50:51], s[38:39]
	s_cbranch_execnz .LBB23_61
; %bb.58:                               ;   in Loop: Header=BB23_53 Depth=2
	s_or_b64 exec, exec, s[50:51]
	s_and_saveexec_b64 s[50:51], s[40:41]
	s_cbranch_execnz .LBB23_65
.LBB23_59:                              ;   in Loop: Header=BB23_53 Depth=2
	s_or_b64 exec, exec, s[50:51]
	s_and_saveexec_b64 s[50:51], s[42:43]
	s_cbranch_execnz .LBB23_69
.LBB23_60:                              ;   in Loop: Header=BB23_53 Depth=2
	s_or_b64 exec, exec, s[50:51]
	s_and_saveexec_b64 s[50:51], s[44:45]
	s_cbranch_execnz .LBB23_73
	s_branch .LBB23_77
.LBB23_61:                              ;   in Loop: Header=BB23_53 Depth=2
	s_and_b64 vcc, exec, s[4:5]
	s_cbranch_vccz .LBB23_79
; %bb.62:                               ;   in Loop: Header=BB23_53 Depth=2
	v_add_u32_e32 v2, v19, v23
	v_mov_b32_e32 v25, v8
	s_cbranch_execnz .LBB23_64
.LBB23_63:                              ;   in Loop: Header=BB23_53 Depth=2
	v_add_u32_e32 v2, v24, v1
	v_mov_b32_e32 v25, v6
.LBB23_64:                              ;   in Loop: Header=BB23_53 Depth=2
	v_lshlrev_b64 v[26:27], 3, v[2:3]
	v_mov_b32_e32 v2, s27
	v_add_co_u32_e32 v26, vcc, s26, v26
	v_addc_co_u32_e32 v27, vcc, v2, v27, vcc
	global_load_dwordx2 v[26:27], v[26:27], off
	v_lshlrev_b32_e32 v2, 3, v25
	ds_read_b64 v[28:29], v2
	s_waitcnt vmcnt(0) lgkmcnt(0)
	v_pk_fma_f32 v[28:29], s[16:17], v[26:27], v[28:29] op_sel_hi:[1,0,1]
	v_pk_fma_f32 v[26:27], s[36:37], v[26:27], v[28:29] op_sel:[0,1,0]
	ds_write_b64 v2, v[26:27]
	s_or_b64 exec, exec, s[50:51]
	s_and_saveexec_b64 s[50:51], s[40:41]
	s_cbranch_execz .LBB23_59
.LBB23_65:                              ;   in Loop: Header=BB23_53 Depth=2
	s_and_b64 vcc, exec, s[0:1]
	s_cbranch_vccnz .LBB23_80
; %bb.66:                               ;   in Loop: Header=BB23_53 Depth=2
	v_add_u32_e32 v2, v20, v23
	v_mov_b32_e32 v25, v10
	s_cbranch_execnz .LBB23_68
.LBB23_67:                              ;   in Loop: Header=BB23_53 Depth=2
	v_add_u32_e32 v2, v24, v9
	v_mov_b32_e32 v25, v11
.LBB23_68:                              ;   in Loop: Header=BB23_53 Depth=2
	v_lshlrev_b64 v[26:27], 3, v[2:3]
	v_mov_b32_e32 v2, s27
	v_add_co_u32_e32 v26, vcc, s26, v26
	v_addc_co_u32_e32 v27, vcc, v2, v27, vcc
	global_load_dwordx2 v[26:27], v[26:27], off
	v_lshlrev_b32_e32 v2, 3, v25
	ds_read_b64 v[28:29], v2
	s_waitcnt vmcnt(0) lgkmcnt(0)
	v_pk_fma_f32 v[28:29], s[16:17], v[26:27], v[28:29] op_sel_hi:[1,0,1]
	v_pk_fma_f32 v[26:27], s[36:37], v[26:27], v[28:29] op_sel:[0,1,0]
	ds_write_b64 v2, v[26:27]
	s_or_b64 exec, exec, s[50:51]
	s_and_saveexec_b64 s[50:51], s[42:43]
	s_cbranch_execz .LBB23_60
.LBB23_69:                              ;   in Loop: Header=BB23_53 Depth=2
	s_and_b64 vcc, exec, s[0:1]
	s_cbranch_vccnz .LBB23_81
; %bb.70:                               ;   in Loop: Header=BB23_53 Depth=2
	v_add_u32_e32 v2, v21, v23
	v_mov_b32_e32 v25, v13
	s_cbranch_execnz .LBB23_72
.LBB23_71:                              ;   in Loop: Header=BB23_53 Depth=2
	v_add_u32_e32 v2, v24, v12
	v_mov_b32_e32 v25, v14
.LBB23_72:                              ;   in Loop: Header=BB23_53 Depth=2
	v_lshlrev_b64 v[26:27], 3, v[2:3]
	v_mov_b32_e32 v2, s27
	v_add_co_u32_e32 v26, vcc, s26, v26
	v_addc_co_u32_e32 v27, vcc, v2, v27, vcc
	global_load_dwordx2 v[26:27], v[26:27], off
	v_lshlrev_b32_e32 v2, 3, v25
	ds_read_b64 v[28:29], v2
	s_waitcnt vmcnt(0) lgkmcnt(0)
	v_pk_fma_f32 v[28:29], s[16:17], v[26:27], v[28:29] op_sel_hi:[1,0,1]
	v_pk_fma_f32 v[26:27], s[36:37], v[26:27], v[28:29] op_sel:[0,1,0]
	ds_write_b64 v2, v[26:27]
	s_or_b64 exec, exec, s[50:51]
	s_and_saveexec_b64 s[50:51], s[44:45]
	s_cbranch_execz .LBB23_77
.LBB23_73:                              ;   in Loop: Header=BB23_53 Depth=2
	s_and_b64 vcc, exec, s[0:1]
	s_cbranch_vccnz .LBB23_82
; %bb.74:                               ;   in Loop: Header=BB23_53 Depth=2
	v_add_u32_e32 v2, v22, v23
	v_mov_b32_e32 v25, v16
	s_cbranch_execnz .LBB23_76
.LBB23_75:                              ;   in Loop: Header=BB23_53 Depth=2
	v_add_u32_e32 v2, v24, v15
	v_mov_b32_e32 v25, v17
.LBB23_76:                              ;   in Loop: Header=BB23_53 Depth=2
	v_lshlrev_b64 v[26:27], 3, v[2:3]
	v_mov_b32_e32 v2, s27
	v_add_co_u32_e32 v26, vcc, s26, v26
	v_addc_co_u32_e32 v27, vcc, v2, v27, vcc
	global_load_dwordx2 v[26:27], v[26:27], off
	v_lshlrev_b32_e32 v2, 3, v25
	ds_read_b64 v[24:25], v2
	s_waitcnt vmcnt(0) lgkmcnt(0)
	v_pk_fma_f32 v[24:25], s[16:17], v[26:27], v[24:25] op_sel_hi:[1,0,1]
	v_pk_fma_f32 v[24:25], s[36:37], v[26:27], v[24:25] op_sel:[0,1,0]
	ds_write_b64 v2, v[24:25]
.LBB23_77:                              ;   in Loop: Header=BB23_53 Depth=2
	s_or_b64 exec, exec, s[50:51]
	s_mov_b32 s29, s23
	s_andn2_b64 vcc, exec, s[48:49]
	s_cbranch_vccz .LBB23_52
.LBB23_78:                              ;   in Loop: Header=BB23_16 Depth=1
                                        ; implicit-def: $vgpr23
                                        ; implicit-def: $sgpr46_sgpr47
	s_mov_b32 s23, s29
	s_branch .LBB23_84
.LBB23_79:                              ;   in Loop: Header=BB23_53 Depth=2
	v_mov_b32_e32 v25, v8
	s_branch .LBB23_63
.LBB23_80:                              ;   in Loop: Header=BB23_53 Depth=2
	v_mov_b32_e32 v25, v10
	s_branch .LBB23_67
.LBB23_81:                              ;   in Loop: Header=BB23_53 Depth=2
	v_mov_b32_e32 v25, v13
	s_branch .LBB23_71
.LBB23_82:                              ;   in Loop: Header=BB23_53 Depth=2
	v_mov_b32_e32 v25, v16
	s_branch .LBB23_75
.LBB23_83:                              ;   in Loop: Header=BB23_16 Depth=1
	s_mov_b32 s29, s23
.LBB23_84:                              ;   in Loop: Header=BB23_16 Depth=1
	s_waitcnt lgkmcnt(0)
	s_barrier
	ds_read_b32 v2, v3 offset:8192
	s_waitcnt lgkmcnt(0)
	v_cmp_eq_u32_e32 vcc, 0, v2
	s_cbranch_vccnz .LBB23_15
; %bb.85:                               ;   in Loop: Header=BB23_16 Depth=1
	s_add_i32 s23, s31, s10
	s_ashr_i32 s31, s30, 31
	s_lshl_b64 s[46:47], s[30:31], 2
	s_add_u32 s46, s12, s46
	s_addc_u32 s47, s13, s47
	v_mov_b32_e32 v2, s23
	s_mul_i32 s23, s30, s21
	global_store_dword v3, v2, s[46:47]
	v_add_u32_e32 v2, s23, v0
	v_mul_lo_u32 v19, v2, s21
	s_and_saveexec_b64 s[46:47], s[38:39]
	s_cbranch_execnz .LBB23_89
; %bb.86:                               ;   in Loop: Header=BB23_16 Depth=1
	s_or_b64 exec, exec, s[46:47]
	s_and_saveexec_b64 s[46:47], s[40:41]
	s_cbranch_execnz .LBB23_93
.LBB23_87:                              ;   in Loop: Header=BB23_16 Depth=1
	s_or_b64 exec, exec, s[46:47]
	s_and_saveexec_b64 s[46:47], s[42:43]
	s_cbranch_execnz .LBB23_97
.LBB23_88:                              ;   in Loop: Header=BB23_16 Depth=1
	s_or_b64 exec, exec, s[46:47]
	s_and_saveexec_b64 s[46:47], s[44:45]
	s_cbranch_execz .LBB23_14
	s_branch .LBB23_101
.LBB23_89:                              ;   in Loop: Header=BB23_16 Depth=1
	s_and_b64 vcc, exec, s[4:5]
	s_cbranch_vccz .LBB23_103
; %bb.90:                               ;   in Loop: Header=BB23_16 Depth=1
	v_add_u32_e32 v2, s23, v1
	v_mad_u64_u32 v[20:21], s[48:49], v2, s21, v[0:1]
	v_mov_b32_e32 v2, v20
	v_mov_b32_e32 v20, v8
	s_cbranch_execnz .LBB23_92
.LBB23_91:                              ;   in Loop: Header=BB23_16 Depth=1
	v_add_u32_e32 v2, v19, v1
	v_mov_b32_e32 v20, v6
.LBB23_92:                              ;   in Loop: Header=BB23_16 Depth=1
	v_lshlrev_b32_e32 v22, 3, v20
	ds_read_b64 v[22:23], v22
	v_lshlrev_b64 v[20:21], 3, v[2:3]
	v_mov_b32_e32 v2, s15
	v_add_co_u32_e32 v20, vcc, s14, v20
	v_addc_co_u32_e32 v21, vcc, v2, v21, vcc
	s_waitcnt lgkmcnt(0)
	global_store_dwordx2 v[20:21], v[22:23], off
	s_or_b64 exec, exec, s[46:47]
	s_and_saveexec_b64 s[46:47], s[40:41]
	s_cbranch_execz .LBB23_87
.LBB23_93:                              ;   in Loop: Header=BB23_16 Depth=1
	s_and_b64 vcc, exec, s[0:1]
	s_cbranch_vccnz .LBB23_104
; %bb.94:                               ;   in Loop: Header=BB23_16 Depth=1
	v_add_u32_e32 v2, s23, v9
	v_mad_u64_u32 v[20:21], s[48:49], v2, s21, v[0:1]
	v_mov_b32_e32 v2, v20
	v_mov_b32_e32 v20, v10
	s_cbranch_execnz .LBB23_96
.LBB23_95:                              ;   in Loop: Header=BB23_16 Depth=1
	v_add_u32_e32 v2, v19, v9
	v_mov_b32_e32 v20, v11
.LBB23_96:                              ;   in Loop: Header=BB23_16 Depth=1
	v_lshlrev_b32_e32 v22, 3, v20
	ds_read_b64 v[22:23], v22
	v_lshlrev_b64 v[20:21], 3, v[2:3]
	v_mov_b32_e32 v2, s15
	v_add_co_u32_e32 v20, vcc, s14, v20
	v_addc_co_u32_e32 v21, vcc, v2, v21, vcc
	s_waitcnt lgkmcnt(0)
	global_store_dwordx2 v[20:21], v[22:23], off
	s_or_b64 exec, exec, s[46:47]
	s_and_saveexec_b64 s[46:47], s[42:43]
	s_cbranch_execz .LBB23_88
.LBB23_97:                              ;   in Loop: Header=BB23_16 Depth=1
	s_and_b64 vcc, exec, s[0:1]
	s_cbranch_vccnz .LBB23_105
; %bb.98:                               ;   in Loop: Header=BB23_16 Depth=1
	v_add_u32_e32 v2, s23, v12
	v_mad_u64_u32 v[20:21], s[48:49], v2, s21, v[0:1]
	v_mov_b32_e32 v2, v20
	v_mov_b32_e32 v20, v13
	s_cbranch_execnz .LBB23_100
.LBB23_99:                              ;   in Loop: Header=BB23_16 Depth=1
	v_add_u32_e32 v2, v19, v12
	v_mov_b32_e32 v20, v14
.LBB23_100:                             ;   in Loop: Header=BB23_16 Depth=1
	v_lshlrev_b32_e32 v22, 3, v20
	ds_read_b64 v[22:23], v22
	v_lshlrev_b64 v[20:21], 3, v[2:3]
	v_mov_b32_e32 v2, s15
	v_add_co_u32_e32 v20, vcc, s14, v20
	v_addc_co_u32_e32 v21, vcc, v2, v21, vcc
	s_waitcnt lgkmcnt(0)
	global_store_dwordx2 v[20:21], v[22:23], off
	s_or_b64 exec, exec, s[46:47]
	s_and_saveexec_b64 s[46:47], s[44:45]
	s_cbranch_execz .LBB23_14
.LBB23_101:                             ;   in Loop: Header=BB23_16 Depth=1
	s_and_b64 vcc, exec, s[0:1]
	s_cbranch_vccnz .LBB23_106
; %bb.102:                              ;   in Loop: Header=BB23_16 Depth=1
	v_add_u32_e32 v2, s23, v15
	v_mad_u64_u32 v[20:21], s[48:49], v2, s21, v[0:1]
	v_mov_b32_e32 v2, v20
	v_mov_b32_e32 v20, v16
	s_cbranch_execnz .LBB23_13
	s_branch .LBB23_107
.LBB23_103:                             ;   in Loop: Header=BB23_16 Depth=1
	v_mov_b32_e32 v20, v8
	s_branch .LBB23_91
.LBB23_104:                             ;   in Loop: Header=BB23_16 Depth=1
	v_mov_b32_e32 v20, v10
	s_branch .LBB23_95
.LBB23_105:                             ;   in Loop: Header=BB23_16 Depth=1
	v_mov_b32_e32 v20, v13
	s_branch .LBB23_99
.LBB23_106:                             ;   in Loop: Header=BB23_16 Depth=1
	v_mov_b32_e32 v20, v16
.LBB23_107:                             ;   in Loop: Header=BB23_16 Depth=1
	v_add_u32_e32 v2, v19, v15
	v_mov_b32_e32 v20, v17
	s_branch .LBB23_13
.LBB23_108:
	s_endpgm
	.section	.rodata,"a",@progbits
	.p2align	6, 0x0
	.amdhsa_kernel _ZN9rocsparseL39bsrgeam_block_per_row_multipass_kernel2ILj256ELj32E21rocsparse_complex_numIfEEEv20rocsparse_direction_iiiNS_24const_host_device_scalarIT1_EEPKiS8_PKS5_S6_S8_S8_SA_S8_PiPS5_21rocsparse_index_base_SD_SD_b
		.amdhsa_group_segment_fixed_size 8196
		.amdhsa_private_segment_fixed_size 0
		.amdhsa_kernarg_size 120
		.amdhsa_user_sgpr_count 6
		.amdhsa_user_sgpr_private_segment_buffer 1
		.amdhsa_user_sgpr_dispatch_ptr 0
		.amdhsa_user_sgpr_queue_ptr 0
		.amdhsa_user_sgpr_kernarg_segment_ptr 1
		.amdhsa_user_sgpr_dispatch_id 0
		.amdhsa_user_sgpr_flat_scratch_init 0
		.amdhsa_user_sgpr_kernarg_preload_length 0
		.amdhsa_user_sgpr_kernarg_preload_offset 0
		.amdhsa_user_sgpr_private_segment_size 0
		.amdhsa_uses_dynamic_stack 0
		.amdhsa_system_sgpr_private_segment_wavefront_offset 0
		.amdhsa_system_sgpr_workgroup_id_x 1
		.amdhsa_system_sgpr_workgroup_id_y 0
		.amdhsa_system_sgpr_workgroup_id_z 0
		.amdhsa_system_sgpr_workgroup_info 0
		.amdhsa_system_vgpr_workitem_id 0
		.amdhsa_next_free_vgpr 30
		.amdhsa_next_free_sgpr 55
		.amdhsa_accum_offset 32
		.amdhsa_reserve_vcc 1
		.amdhsa_reserve_flat_scratch 0
		.amdhsa_float_round_mode_32 0
		.amdhsa_float_round_mode_16_64 0
		.amdhsa_float_denorm_mode_32 3
		.amdhsa_float_denorm_mode_16_64 3
		.amdhsa_dx10_clamp 1
		.amdhsa_ieee_mode 1
		.amdhsa_fp16_overflow 0
		.amdhsa_tg_split 0
		.amdhsa_exception_fp_ieee_invalid_op 0
		.amdhsa_exception_fp_denorm_src 0
		.amdhsa_exception_fp_ieee_div_zero 0
		.amdhsa_exception_fp_ieee_overflow 0
		.amdhsa_exception_fp_ieee_underflow 0
		.amdhsa_exception_fp_ieee_inexact 0
		.amdhsa_exception_int_div_zero 0
	.end_amdhsa_kernel
	.section	.text._ZN9rocsparseL39bsrgeam_block_per_row_multipass_kernel2ILj256ELj32E21rocsparse_complex_numIfEEEv20rocsparse_direction_iiiNS_24const_host_device_scalarIT1_EEPKiS8_PKS5_S6_S8_S8_SA_S8_PiPS5_21rocsparse_index_base_SD_SD_b,"axG",@progbits,_ZN9rocsparseL39bsrgeam_block_per_row_multipass_kernel2ILj256ELj32E21rocsparse_complex_numIfEEEv20rocsparse_direction_iiiNS_24const_host_device_scalarIT1_EEPKiS8_PKS5_S6_S8_S8_SA_S8_PiPS5_21rocsparse_index_base_SD_SD_b,comdat
.Lfunc_end23:
	.size	_ZN9rocsparseL39bsrgeam_block_per_row_multipass_kernel2ILj256ELj32E21rocsparse_complex_numIfEEEv20rocsparse_direction_iiiNS_24const_host_device_scalarIT1_EEPKiS8_PKS5_S6_S8_S8_SA_S8_PiPS5_21rocsparse_index_base_SD_SD_b, .Lfunc_end23-_ZN9rocsparseL39bsrgeam_block_per_row_multipass_kernel2ILj256ELj32E21rocsparse_complex_numIfEEEv20rocsparse_direction_iiiNS_24const_host_device_scalarIT1_EEPKiS8_PKS5_S6_S8_S8_SA_S8_PiPS5_21rocsparse_index_base_SD_SD_b
                                        ; -- End function
	.section	.AMDGPU.csdata,"",@progbits
; Kernel info:
; codeLenInByte = 2676
; NumSgprs: 59
; NumVgprs: 30
; NumAgprs: 0
; TotalNumVgprs: 30
; ScratchSize: 0
; MemoryBound: 0
; FloatMode: 240
; IeeeMode: 1
; LDSByteSize: 8196 bytes/workgroup (compile time only)
; SGPRBlocks: 7
; VGPRBlocks: 3
; NumSGPRsForWavesPerEU: 59
; NumVGPRsForWavesPerEU: 30
; AccumOffset: 32
; Occupancy: 7
; WaveLimiterHint : 1
; COMPUTE_PGM_RSRC2:SCRATCH_EN: 0
; COMPUTE_PGM_RSRC2:USER_SGPR: 6
; COMPUTE_PGM_RSRC2:TRAP_HANDLER: 0
; COMPUTE_PGM_RSRC2:TGID_X_EN: 1
; COMPUTE_PGM_RSRC2:TGID_Y_EN: 0
; COMPUTE_PGM_RSRC2:TGID_Z_EN: 0
; COMPUTE_PGM_RSRC2:TIDIG_COMP_CNT: 0
; COMPUTE_PGM_RSRC3_GFX90A:ACCUM_OFFSET: 7
; COMPUTE_PGM_RSRC3_GFX90A:TG_SPLIT: 0
	.section	.text._ZN9rocsparseL39bsrgeam_wf_per_row_multipass_2_3_kernelILj256ELj2ELj32E21rocsparse_complex_numIdEEEv20rocsparse_direction_iiiNS_24const_host_device_scalarIT2_EEPKiS8_PKS5_S6_S8_S8_SA_S8_PiPS5_21rocsparse_index_base_SD_SD_b,"axG",@progbits,_ZN9rocsparseL39bsrgeam_wf_per_row_multipass_2_3_kernelILj256ELj2ELj32E21rocsparse_complex_numIdEEEv20rocsparse_direction_iiiNS_24const_host_device_scalarIT2_EEPKiS8_PKS5_S6_S8_S8_SA_S8_PiPS5_21rocsparse_index_base_SD_SD_b,comdat
	.globl	_ZN9rocsparseL39bsrgeam_wf_per_row_multipass_2_3_kernelILj256ELj2ELj32E21rocsparse_complex_numIdEEEv20rocsparse_direction_iiiNS_24const_host_device_scalarIT2_EEPKiS8_PKS5_S6_S8_S8_SA_S8_PiPS5_21rocsparse_index_base_SD_SD_b ; -- Begin function _ZN9rocsparseL39bsrgeam_wf_per_row_multipass_2_3_kernelILj256ELj2ELj32E21rocsparse_complex_numIdEEEv20rocsparse_direction_iiiNS_24const_host_device_scalarIT2_EEPKiS8_PKS5_S6_S8_S8_SA_S8_PiPS5_21rocsparse_index_base_SD_SD_b
	.p2align	8
	.type	_ZN9rocsparseL39bsrgeam_wf_per_row_multipass_2_3_kernelILj256ELj2ELj32E21rocsparse_complex_numIdEEEv20rocsparse_direction_iiiNS_24const_host_device_scalarIT2_EEPKiS8_PKS5_S6_S8_S8_SA_S8_PiPS5_21rocsparse_index_base_SD_SD_b,@function
_ZN9rocsparseL39bsrgeam_wf_per_row_multipass_2_3_kernelILj256ELj2ELj32E21rocsparse_complex_numIdEEEv20rocsparse_direction_iiiNS_24const_host_device_scalarIT2_EEPKiS8_PKS5_S6_S8_S8_SA_S8_PiPS5_21rocsparse_index_base_SD_SD_b: ; @_ZN9rocsparseL39bsrgeam_wf_per_row_multipass_2_3_kernelILj256ELj2ELj32E21rocsparse_complex_numIdEEEv20rocsparse_direction_iiiNS_24const_host_device_scalarIT2_EEPKiS8_PKS5_S6_S8_S8_SA_S8_PiPS5_21rocsparse_index_base_SD_SD_b
; %bb.0:
	s_load_dwordx4 s[12:15], s[6:7], 0x78
	s_load_dwordx4 s[20:23], s[6:7], 0x10
	;; [unrolled: 1-line block ×3, first 2 shown]
	s_mov_b64 s[2:3], src_shared_base
	s_load_dwordx2 s[4:5], s[4:5], 0x4
	s_waitcnt lgkmcnt(0)
	s_bitcmp1_b32 s15, 0
	s_cselect_b64 s[0:1], -1, 0
	s_and_b64 vcc, s[0:1], exec
	s_cselect_b32 s2, s3, s21
	s_lshr_b32 s4, s4, 16
	v_and_b32_e32 v16, 0x3ff, v0
	s_mul_i32 s4, s4, s5
	v_mul_lo_u32 v1, s4, v16
	v_bfe_u32 v2, v0, 10, 10
	v_mad_u32_u24 v1, v2, s5, v1
	v_bfe_u32 v0, v0, 20, 10
	v_add_lshl_u32 v5, v1, v0, 3
	v_mov_b32_e32 v4, s20
	v_add_u32_e32 v6, 0x4900, v5
	v_pk_mov_b32 v[0:1], s[20:21], s[20:21] op_sel:[0,1]
	v_pk_mov_b32 v[2:3], s[16:17], s[16:17] op_sel:[0,1]
	v_add_u32_e32 v7, 0x100, v5
	ds_write2st64_b64 v7, v[2:3], v[0:1] offset0:32 offset1:36
	v_cndmask_b32_e64 v0, v4, v6, s[0:1]
	v_mov_b32_e32 v1, s2
	flat_load_dwordx2 v[8:9], v[0:1]
	s_xor_b64 s[4:5], s[0:1], -1
	v_add_u32_e32 v0, 0x4100, v5
	v_pk_mov_b32 v[10:11], s[22:23], s[22:23] op_sel:[0,1]
	s_cbranch_vccnz .LBB24_2
; %bb.1:
	v_pk_mov_b32 v[2:3], s[20:21], s[20:21] op_sel:[0,1]
	flat_load_dwordx2 v[10:11], v[2:3] offset:8
.LBB24_2:
	s_and_b64 s[10:11], s[0:1], exec
	s_cselect_b32 s2, s3, s17
	v_mov_b32_e32 v1, s16
	v_cndmask_b32_e64 v0, v1, v0, s[0:1]
	v_mov_b32_e32 v1, s2
	flat_load_dwordx2 v[12:13], v[0:1]
	s_andn2_b64 vcc, exec, s[4:5]
	v_pk_mov_b32 v[14:15], s[18:19], s[18:19] op_sel:[0,1]
	s_cbranch_vccnz .LBB24_4
; %bb.3:
	v_pk_mov_b32 v[0:1], s[16:17], s[16:17] op_sel:[0,1]
	flat_load_dwordx2 v[14:15], v[0:1] offset:8
.LBB24_4:
	s_load_dwordx4 s[16:19], s[6:7], 0x0
	s_lshl_b32 s0, s8, 3
	v_lshrrev_b32_e32 v17, 5, v16
	s_and_b32 s0, s0, 0x7fffff8
	v_or_b32_e32 v0, s0, v17
	s_waitcnt lgkmcnt(0)
	v_cmp_gt_i32_e32 vcc, s17, v0
	s_and_saveexec_b64 s[0:1], vcc
	s_cbranch_execz .LBB24_39
; %bb.5:
	s_load_dwordx4 s[8:11], s[6:7], 0x20
	s_load_dwordx4 s[20:23], s[6:7], 0x48
	s_load_dwordx2 s[0:1], s[6:7], 0x60
	v_lshlrev_b32_e32 v4, 2, v0
	s_waitcnt lgkmcnt(0)
	global_load_dwordx2 v[0:1], v4, s[8:9]
	global_load_dwordx2 v[2:3], v4, s[20:21]
	global_load_dword v18, v4, s[0:1]
	s_waitcnt vmcnt(0)
	v_subrev_u32_e32 v4, s12, v0
	v_cmp_lt_i32_e32 vcc, v0, v1
	v_mov_b32_e32 v0, s18
	s_and_saveexec_b64 s[0:1], vcc
	s_cbranch_execz .LBB24_7
; %bb.6:
	v_ashrrev_i32_e32 v5, 31, v4
	v_lshlrev_b64 v[6:7], 2, v[4:5]
	v_mov_b32_e32 v0, s11
	v_add_co_u32_e32 v6, vcc, s10, v6
	v_addc_co_u32_e32 v7, vcc, v0, v7, vcc
	global_load_dword v0, v[6:7], off
	s_waitcnt vmcnt(0)
	v_subrev_u32_e32 v0, s12, v0
.LBB24_7:
	s_or_b64 exec, exec, s[0:1]
	s_load_dwordx4 s[24:27], s[6:7], 0x68
	s_load_dwordx2 s[8:9], s[6:7], 0x58
	s_load_dwordx2 s[20:21], s[6:7], 0x30
	v_subrev_u32_e32 v6, s13, v2
	v_cmp_lt_i32_e32 vcc, v2, v3
	v_mov_b32_e32 v2, s18
	s_and_saveexec_b64 s[0:1], vcc
	s_cbranch_execz .LBB24_9
; %bb.8:
	v_ashrrev_i32_e32 v7, 31, v6
	v_lshlrev_b64 v[20:21], 2, v[6:7]
	v_mov_b32_e32 v2, s23
	v_add_co_u32_e32 v20, vcc, s22, v20
	v_addc_co_u32_e32 v21, vcc, v2, v21, vcc
	global_load_dword v2, v[20:21], off
	s_waitcnt vmcnt(0)
	v_subrev_u32_e32 v2, s13, v2
.LBB24_9:
	s_or_b64 exec, exec, s[0:1]
	v_min_i32_e32 v38, v2, v0
	v_mbcnt_lo_u32_b32 v0, -1, 0
	v_and_b32_e32 v5, 0xe0, v16
	v_subrev_u32_e32 v26, s12, v1
	v_and_b32_e32 v1, 31, v16
	v_mbcnt_hi_u32_b32 v0, -1, v0
	v_or_b32_e32 v24, 0x4000, v5
	v_and_b32_e32 v2, 64, v0
	v_xor_b32_e32 v5, 31, v1
	v_add_u32_e32 v2, 64, v2
	v_lshrrev_b32_e64 v30, v5, -1
	v_xor_b32_e32 v5, 16, v0
	v_cmp_lt_i32_e64 s[0:1], v5, v2
	v_cndmask_b32_e64 v5, v0, v5, s[0:1]
	v_lshlrev_b32_e32 v32, 2, v5
	v_xor_b32_e32 v5, 8, v0
	v_cmp_lt_i32_e64 s[0:1], v5, v2
	v_cndmask_b32_e64 v5, v0, v5, s[0:1]
	v_lshlrev_b32_e32 v34, 2, v5
	;; [unrolled: 4-line block ×4, first 2 shown]
	s_cmp_eq_u32 s16, 0
	v_lshlrev_b32_e32 v36, 2, v5
	v_xor_b32_e32 v5, 1, v0
	s_mov_b32 s4, 0
	v_lshl_or_b32 v29, v1, 6, v25
	s_cselect_b64 vcc, -1, 0
	s_cmp_lg_u32 s16, 0
	v_cmp_lt_i32_e64 s[0:1], v5, v2
	v_subrev_u32_e32 v27, s13, v3
	v_add_u32_e32 v16, v4, v1
	v_or_b32_e32 v3, 16, v29
	v_or_b32_e32 v4, 32, v29
	v_cndmask_b32_e64 v0, v0, v5, s[0:1]
	s_mov_b32 s5, s4
	s_cselect_b64 s[0:1], -1, 0
	v_subrev_u32_e32 v28, s14, v18
	v_add_u32_e32 v18, v6, v1
	v_add_u32_e32 v31, s14, v1
	v_lshlrev_b32_e32 v37, 2, v0
	v_cndmask_b32_e32 v39, v4, v3, vcc
	v_cndmask_b32_e32 v40, v3, v4, vcc
	v_add_u32_e32 v41, v24, v1
	s_mov_b32 s6, s4
	s_mov_b32 s7, s4
	v_pk_mov_b32 v[0:1], s[4:5], s[4:5] op_sel:[0,1]
	v_cndmask_b32_e64 v4, 0, 1, s[0:1]
	v_mov_b32_e32 v21, 0
	v_or_b32_e32 v33, 48, v29
	s_mov_b64 s[14:15], 0
	v_pk_mov_b32 v[2:3], s[6:7], s[6:7] op_sel:[0,1]
	v_cmp_ne_u32_e64 s[0:1], 1, v4
	v_mov_b32_e32 v42, 1
	s_branch .LBB24_11
.LBB24_10:                              ;   in Loop: Header=BB24_11 Depth=1
	s_or_b64 exec, exec, s[4:5]
	ds_bpermute_b32 v4, v32, v43
	s_bcnt1_i32_b64 s2, vcc
	v_add_u32_e32 v28, s2, v28
	s_waitcnt lgkmcnt(0)
	v_min_i32_e32 v4, v4, v43
	ds_bpermute_b32 v5, v34, v4
	s_waitcnt lgkmcnt(0)
	v_min_i32_e32 v4, v5, v4
	ds_bpermute_b32 v5, v35, v4
	;; [unrolled: 3-line block ×4, first 2 shown]
	s_waitcnt lgkmcnt(0)
	v_min_i32_e32 v38, v5, v4
	v_cmp_le_i32_e32 vcc, s18, v38
	s_or_b64 s[14:15], vcc, s[14:15]
	s_andn2_b64 exec, exec, s[14:15]
	s_cbranch_execz .LBB24_39
.LBB24_11:                              ; =>This Loop Header: Depth=1
                                        ;     Child Loop BB24_14 Depth 2
                                        ;     Child Loop BB24_27 Depth 2
	v_cmp_lt_i32_e32 vcc, v16, v26
	v_mov_b32_e32 v43, s18
	ds_write_b8 v41, v21
	ds_write_b128 v29, v[0:3]
	ds_write_b128 v29, v[0:3] offset:16
	ds_write_b128 v29, v[0:3] offset:32
	;; [unrolled: 1-line block ×3, first 2 shown]
	s_waitcnt lgkmcnt(0)
	s_and_saveexec_b64 s[4:5], vcc
	s_cbranch_execz .LBB24_24
; %bb.12:                               ;   in Loop: Header=BB24_11 Depth=1
	v_lshlrev_b32_e32 v20, 2, v16
	s_mov_b64 s[6:7], 0
	v_mov_b32_e32 v43, s18
	s_branch .LBB24_14
.LBB24_13:                              ;   in Loop: Header=BB24_14 Depth=2
	s_or_b64 exec, exec, s[28:29]
	s_and_b64 s[2:3], exec, s[16:17]
	s_or_b64 s[6:7], s[2:3], s[6:7]
	s_andn2_b64 exec, exec, s[6:7]
	s_cbranch_execz .LBB24_23
.LBB24_14:                              ;   Parent Loop BB24_11 Depth=1
                                        ; =>  This Inner Loop Header: Depth=2
	v_ashrrev_i32_e32 v17, 31, v16
	v_lshlrev_b64 v[4:5], 2, v[16:17]
	v_mov_b32_e32 v6, s11
	v_add_co_u32_e32 v4, vcc, s10, v4
	v_addc_co_u32_e32 v5, vcc, v6, v5, vcc
	global_load_dword v4, v[4:5], off
	s_waitcnt vmcnt(0)
	v_subrev_u32_e32 v4, s12, v4
	v_sub_u32_e32 v6, v4, v38
	v_cmp_gt_u32_e64 s[2:3], 32, v6
	v_cmp_lt_u32_e32 vcc, 31, v6
	s_and_saveexec_b64 s[16:17], vcc
	s_xor_b64 s[16:17], exec, s[16:17]
; %bb.15:                               ;   in Loop: Header=BB24_14 Depth=2
	v_min_i32_e32 v43, v4, v43
                                        ; implicit-def: $vgpr6
; %bb.16:                               ;   in Loop: Header=BB24_14 Depth=2
	s_andn2_saveexec_b64 s[16:17], s[16:17]
	s_cbranch_execz .LBB24_21
; %bb.17:                               ;   in Loop: Header=BB24_14 Depth=2
	v_lshlrev_b64 v[4:5], 4, v[20:21]
	v_mov_b32_e32 v7, s21
	v_add_co_u32_e32 v4, vcc, s20, v4
	v_addc_co_u32_e32 v5, vcc, v7, v5, vcc
	global_load_dwordx4 v[44:47], v[4:5], off
	v_add_u32_e32 v7, v24, v6
	v_lshlrev_b32_e32 v6, 6, v6
	v_add_u32_e32 v6, v25, v6
	s_and_b64 vcc, exec, s[0:1]
	ds_write_b8 v7, v42
	s_waitcnt vmcnt(0)
	v_mul_f64 v[48:49], v[46:47], -v[10:11]
	v_mul_f64 v[50:51], v[8:9], v[46:47]
	v_fmac_f64_e32 v[48:49], v[8:9], v[44:45]
	v_fmac_f64_e32 v[50:51], v[10:11], v[44:45]
	ds_write_b128 v6, v[48:51]
	s_cbranch_vccnz .LBB24_19
; %bb.18:                               ;   in Loop: Header=BB24_14 Depth=2
	global_load_dwordx4 v[44:47], v[4:5], off offset:32
	global_load_dwordx4 v[48:51], v[4:5], off offset:16
	;; [unrolled: 1-line block ×3, first 2 shown]
	s_waitcnt vmcnt(2)
	v_mul_f64 v[56:57], v[46:47], -v[10:11]
	v_mul_f64 v[58:59], v[8:9], v[46:47]
	s_waitcnt vmcnt(1)
	v_mul_f64 v[60:61], v[50:51], -v[10:11]
	v_mul_f64 v[62:63], v[8:9], v[50:51]
	;; [unrolled: 3-line block ×3, first 2 shown]
	v_fmac_f64_e32 v[56:57], v[8:9], v[44:45]
	v_fmac_f64_e32 v[58:59], v[10:11], v[44:45]
	;; [unrolled: 1-line block ×6, first 2 shown]
	ds_write_b128 v6, v[56:59] offset:16
	ds_write_b128 v6, v[60:63] offset:32
	;; [unrolled: 1-line block ×3, first 2 shown]
	s_cbranch_execz .LBB24_20
	s_branch .LBB24_21
.LBB24_19:                              ;   in Loop: Header=BB24_14 Depth=2
.LBB24_20:                              ;   in Loop: Header=BB24_14 Depth=2
	global_load_dwordx4 v[44:47], v[4:5], off offset:16
	global_load_dwordx4 v[48:51], v[4:5], off offset:32
	;; [unrolled: 1-line block ×3, first 2 shown]
	s_waitcnt vmcnt(2)
	v_mul_f64 v[56:57], v[46:47], -v[10:11]
	v_mul_f64 v[58:59], v[8:9], v[46:47]
	s_waitcnt vmcnt(1)
	v_mul_f64 v[60:61], v[50:51], -v[10:11]
	v_mul_f64 v[62:63], v[8:9], v[50:51]
	;; [unrolled: 3-line block ×3, first 2 shown]
	v_fmac_f64_e32 v[56:57], v[8:9], v[44:45]
	v_fmac_f64_e32 v[58:59], v[10:11], v[44:45]
	;; [unrolled: 1-line block ×6, first 2 shown]
	ds_write_b128 v6, v[56:59] offset:16
	ds_write_b128 v6, v[60:63] offset:32
	;; [unrolled: 1-line block ×3, first 2 shown]
.LBB24_21:                              ;   in Loop: Header=BB24_14 Depth=2
	s_or_b64 exec, exec, s[16:17]
	s_mov_b64 s[16:17], -1
	s_and_saveexec_b64 s[28:29], s[2:3]
	s_cbranch_execz .LBB24_13
; %bb.22:                               ;   in Loop: Header=BB24_14 Depth=2
	v_add_u32_e32 v16, 32, v16
	v_cmp_ge_i32_e32 vcc, v16, v26
	v_add_u32_e32 v20, 0x80, v20
	s_orn2_b64 s[16:17], vcc, exec
	s_branch .LBB24_13
.LBB24_23:                              ;   in Loop: Header=BB24_11 Depth=1
	s_or_b64 exec, exec, s[6:7]
.LBB24_24:                              ;   in Loop: Header=BB24_11 Depth=1
	s_or_b64 exec, exec, s[4:5]
	v_cmp_lt_i32_e32 vcc, v18, v27
	s_waitcnt lgkmcnt(0)
	s_and_saveexec_b64 s[4:5], vcc
	s_cbranch_execz .LBB24_37
; %bb.25:                               ;   in Loop: Header=BB24_11 Depth=1
	v_lshlrev_b32_e32 v20, 2, v18
	s_mov_b64 s[6:7], 0
	s_branch .LBB24_27
.LBB24_26:                              ;   in Loop: Header=BB24_27 Depth=2
	s_or_b64 exec, exec, s[28:29]
	s_and_b64 s[2:3], exec, s[16:17]
	s_or_b64 s[6:7], s[2:3], s[6:7]
	s_andn2_b64 exec, exec, s[6:7]
	s_cbranch_execz .LBB24_36
.LBB24_27:                              ;   Parent Loop BB24_11 Depth=1
                                        ; =>  This Inner Loop Header: Depth=2
	v_ashrrev_i32_e32 v19, 31, v18
	s_waitcnt lgkmcnt(1)
	v_lshlrev_b64 v[4:5], 2, v[18:19]
	v_mov_b32_e32 v6, s23
	v_add_co_u32_e32 v4, vcc, s22, v4
	v_addc_co_u32_e32 v5, vcc, v6, v5, vcc
	global_load_dword v4, v[4:5], off
	s_waitcnt vmcnt(0)
	v_subrev_u32_e32 v5, s13, v4
	v_sub_u32_e32 v4, v5, v38
	v_cmp_gt_u32_e64 s[2:3], 32, v4
	v_cmp_lt_u32_e32 vcc, 31, v4
	s_and_saveexec_b64 s[16:17], vcc
	s_xor_b64 s[16:17], exec, s[16:17]
; %bb.28:                               ;   in Loop: Header=BB24_27 Depth=2
	v_min_i32_e32 v43, v5, v43
                                        ; implicit-def: $vgpr4
; %bb.29:                               ;   in Loop: Header=BB24_27 Depth=2
	s_andn2_saveexec_b64 s[16:17], s[16:17]
	s_cbranch_execz .LBB24_34
; %bb.30:                               ;   in Loop: Header=BB24_27 Depth=2
	v_lshlrev_b64 v[6:7], 4, v[20:21]
	v_mov_b32_e32 v5, s9
	v_add_co_u32_e32 v22, vcc, s8, v6
	v_addc_co_u32_e32 v23, vcc, v5, v7, vcc
	global_load_dwordx4 v[44:47], v[22:23], off
	v_lshlrev_b32_e32 v5, 6, v4
	v_add_u32_e32 v17, v25, v5
	ds_read_b128 v[48:51], v17
	v_add_u32_e32 v4, v24, v4
	ds_write_b8 v4, v42
	ds_read_b128 v[4:7], v17 offset:16
	s_and_b64 vcc, exec, s[0:1]
	s_waitcnt vmcnt(0) lgkmcnt(2)
	v_fmac_f64_e32 v[48:49], v[12:13], v[44:45]
	v_fmac_f64_e32 v[50:51], v[14:15], v[44:45]
	v_fma_f64 v[48:49], -v[14:15], v[46:47], v[48:49]
	v_fmac_f64_e32 v[50:51], v[12:13], v[46:47]
	ds_write_b128 v17, v[48:51]
	s_cbranch_vccnz .LBB24_32
; %bb.31:                               ;   in Loop: Header=BB24_27 Depth=2
	global_load_dwordx4 v[44:47], v[22:23], off offset:32
	global_load_dwordx4 v[48:51], v[22:23], off offset:16
	;; [unrolled: 1-line block ×3, first 2 shown]
	ds_read_b128 v[56:59], v17 offset:32
	ds_read_b128 v[60:63], v17 offset:48
	s_waitcnt vmcnt(2) lgkmcnt(3)
	v_fma_f64 v[64:65], v[12:13], v[44:45], v[4:5]
	v_fma_f64 v[66:67], v[14:15], v[44:45], v[6:7]
	s_waitcnt vmcnt(1) lgkmcnt(1)
	v_fmac_f64_e32 v[56:57], v[12:13], v[48:49]
	v_fmac_f64_e32 v[58:59], v[14:15], v[48:49]
	s_waitcnt vmcnt(0) lgkmcnt(0)
	v_fmac_f64_e32 v[60:61], v[12:13], v[52:53]
	v_fmac_f64_e32 v[62:63], v[14:15], v[52:53]
	v_fma_f64 v[64:65], -v[14:15], v[46:47], v[64:65]
	v_fmac_f64_e32 v[66:67], v[12:13], v[46:47]
	v_fma_f64 v[56:57], -v[14:15], v[50:51], v[56:57]
	;; [unrolled: 2-line block ×3, first 2 shown]
	v_fmac_f64_e32 v[62:63], v[12:13], v[54:55]
	ds_write_b128 v17, v[64:67] offset:16
	ds_write_b128 v17, v[56:59] offset:32
	;; [unrolled: 1-line block ×3, first 2 shown]
	s_cbranch_execz .LBB24_33
	s_branch .LBB24_34
.LBB24_32:                              ;   in Loop: Header=BB24_27 Depth=2
.LBB24_33:                              ;   in Loop: Header=BB24_27 Depth=2
	global_load_dwordx4 v[44:47], v[22:23], off offset:16
	global_load_dwordx4 v[48:51], v[22:23], off offset:32
	;; [unrolled: 1-line block ×3, first 2 shown]
	ds_read_b128 v[56:59], v17 offset:32
	ds_read_b128 v[60:63], v17 offset:48
	s_waitcnt vmcnt(2) lgkmcnt(3)
	v_fmac_f64_e32 v[4:5], v[12:13], v[44:45]
	v_fmac_f64_e32 v[6:7], v[14:15], v[44:45]
	s_waitcnt vmcnt(1) lgkmcnt(1)
	v_fmac_f64_e32 v[56:57], v[12:13], v[48:49]
	v_fmac_f64_e32 v[58:59], v[14:15], v[48:49]
	;; [unrolled: 3-line block ×3, first 2 shown]
	v_fma_f64 v[4:5], -v[14:15], v[46:47], v[4:5]
	v_fmac_f64_e32 v[6:7], v[12:13], v[46:47]
	v_fma_f64 v[56:57], -v[14:15], v[50:51], v[56:57]
	v_fmac_f64_e32 v[58:59], v[12:13], v[50:51]
	;; [unrolled: 2-line block ×3, first 2 shown]
	ds_write_b128 v17, v[4:7] offset:16
	ds_write_b128 v17, v[56:59] offset:32
	;; [unrolled: 1-line block ×3, first 2 shown]
.LBB24_34:                              ;   in Loop: Header=BB24_27 Depth=2
	s_or_b64 exec, exec, s[16:17]
	s_mov_b64 s[16:17], -1
	s_and_saveexec_b64 s[28:29], s[2:3]
	s_cbranch_execz .LBB24_26
; %bb.35:                               ;   in Loop: Header=BB24_27 Depth=2
	v_add_u32_e32 v18, 32, v18
	v_cmp_ge_i32_e32 vcc, v18, v27
	v_add_u32_e32 v20, 0x80, v20
	s_orn2_b64 s[16:17], vcc, exec
	s_branch .LBB24_26
.LBB24_36:                              ;   in Loop: Header=BB24_11 Depth=1
	s_or_b64 exec, exec, s[6:7]
.LBB24_37:                              ;   in Loop: Header=BB24_11 Depth=1
	s_or_b64 exec, exec, s[4:5]
	s_waitcnt lgkmcnt(0)
	ds_read_u8 v4, v41
	s_waitcnt lgkmcnt(0)
	v_and_b32_e32 v5, 1, v4
	v_cmp_eq_u32_e64 s[2:3], 1, v5
	v_cmp_ne_u16_e32 vcc, 0, v4
	s_and_saveexec_b64 s[4:5], s[2:3]
	s_cbranch_execz .LBB24_10
; %bb.38:                               ;   in Loop: Header=BB24_11 Depth=1
	v_and_b32_e32 v4, vcc_lo, v30
	v_bcnt_u32_b32 v4, v4, 0
	v_add3_u32 v4, v28, v4, -1
	v_ashrrev_i32_e32 v5, 31, v4
	v_lshlrev_b64 v[6:7], 2, v[4:5]
	v_mov_b32_e32 v5, s25
	v_add_co_u32_e64 v6, s[2:3], s24, v6
	v_add_u32_e32 v17, v31, v38
	v_addc_co_u32_e64 v7, s[2:3], v5, v7, s[2:3]
	global_store_dword v[6:7], v17, off
	v_lshlrev_b32_e32 v20, 2, v4
	ds_read2_b64 v[4:7], v29 offset1:1
	ds_read2_b64 v[44:47], v39 offset1:1
	;; [unrolled: 1-line block ×4, first 2 shown]
	v_lshlrev_b64 v[22:23], 4, v[20:21]
	v_mov_b32_e32 v17, s27
	v_add_co_u32_e64 v22, s[2:3], s26, v22
	v_addc_co_u32_e64 v23, s[2:3], v17, v23, s[2:3]
	s_waitcnt lgkmcnt(3)
	global_store_dwordx4 v[22:23], v[4:7], off
	s_waitcnt lgkmcnt(2)
	global_store_dwordx4 v[22:23], v[44:47], off offset:16
	s_waitcnt lgkmcnt(1)
	global_store_dwordx4 v[22:23], v[48:51], off offset:32
	;; [unrolled: 2-line block ×3, first 2 shown]
	s_branch .LBB24_10
.LBB24_39:
	s_endpgm
	.section	.rodata,"a",@progbits
	.p2align	6, 0x0
	.amdhsa_kernel _ZN9rocsparseL39bsrgeam_wf_per_row_multipass_2_3_kernelILj256ELj2ELj32E21rocsparse_complex_numIdEEEv20rocsparse_direction_iiiNS_24const_host_device_scalarIT2_EEPKiS8_PKS5_S6_S8_S8_SA_S8_PiPS5_21rocsparse_index_base_SD_SD_b
		.amdhsa_group_segment_fixed_size 20736
		.amdhsa_private_segment_fixed_size 0
		.amdhsa_kernarg_size 136
		.amdhsa_user_sgpr_count 8
		.amdhsa_user_sgpr_private_segment_buffer 1
		.amdhsa_user_sgpr_dispatch_ptr 1
		.amdhsa_user_sgpr_queue_ptr 0
		.amdhsa_user_sgpr_kernarg_segment_ptr 1
		.amdhsa_user_sgpr_dispatch_id 0
		.amdhsa_user_sgpr_flat_scratch_init 0
		.amdhsa_user_sgpr_kernarg_preload_length 0
		.amdhsa_user_sgpr_kernarg_preload_offset 0
		.amdhsa_user_sgpr_private_segment_size 0
		.amdhsa_uses_dynamic_stack 0
		.amdhsa_system_sgpr_private_segment_wavefront_offset 0
		.amdhsa_system_sgpr_workgroup_id_x 1
		.amdhsa_system_sgpr_workgroup_id_y 0
		.amdhsa_system_sgpr_workgroup_id_z 0
		.amdhsa_system_sgpr_workgroup_info 0
		.amdhsa_system_vgpr_workitem_id 2
		.amdhsa_next_free_vgpr 68
		.amdhsa_next_free_sgpr 30
		.amdhsa_accum_offset 68
		.amdhsa_reserve_vcc 1
		.amdhsa_reserve_flat_scratch 0
		.amdhsa_float_round_mode_32 0
		.amdhsa_float_round_mode_16_64 0
		.amdhsa_float_denorm_mode_32 3
		.amdhsa_float_denorm_mode_16_64 3
		.amdhsa_dx10_clamp 1
		.amdhsa_ieee_mode 1
		.amdhsa_fp16_overflow 0
		.amdhsa_tg_split 0
		.amdhsa_exception_fp_ieee_invalid_op 0
		.amdhsa_exception_fp_denorm_src 0
		.amdhsa_exception_fp_ieee_div_zero 0
		.amdhsa_exception_fp_ieee_overflow 0
		.amdhsa_exception_fp_ieee_underflow 0
		.amdhsa_exception_fp_ieee_inexact 0
		.amdhsa_exception_int_div_zero 0
	.end_amdhsa_kernel
	.section	.text._ZN9rocsparseL39bsrgeam_wf_per_row_multipass_2_3_kernelILj256ELj2ELj32E21rocsparse_complex_numIdEEEv20rocsparse_direction_iiiNS_24const_host_device_scalarIT2_EEPKiS8_PKS5_S6_S8_S8_SA_S8_PiPS5_21rocsparse_index_base_SD_SD_b,"axG",@progbits,_ZN9rocsparseL39bsrgeam_wf_per_row_multipass_2_3_kernelILj256ELj2ELj32E21rocsparse_complex_numIdEEEv20rocsparse_direction_iiiNS_24const_host_device_scalarIT2_EEPKiS8_PKS5_S6_S8_S8_SA_S8_PiPS5_21rocsparse_index_base_SD_SD_b,comdat
.Lfunc_end24:
	.size	_ZN9rocsparseL39bsrgeam_wf_per_row_multipass_2_3_kernelILj256ELj2ELj32E21rocsparse_complex_numIdEEEv20rocsparse_direction_iiiNS_24const_host_device_scalarIT2_EEPKiS8_PKS5_S6_S8_S8_SA_S8_PiPS5_21rocsparse_index_base_SD_SD_b, .Lfunc_end24-_ZN9rocsparseL39bsrgeam_wf_per_row_multipass_2_3_kernelILj256ELj2ELj32E21rocsparse_complex_numIdEEEv20rocsparse_direction_iiiNS_24const_host_device_scalarIT2_EEPKiS8_PKS5_S6_S8_S8_SA_S8_PiPS5_21rocsparse_index_base_SD_SD_b
                                        ; -- End function
	.section	.AMDGPU.csdata,"",@progbits
; Kernel info:
; codeLenInByte = 2340
; NumSgprs: 34
; NumVgprs: 68
; NumAgprs: 0
; TotalNumVgprs: 68
; ScratchSize: 0
; MemoryBound: 0
; FloatMode: 240
; IeeeMode: 1
; LDSByteSize: 20736 bytes/workgroup (compile time only)
; SGPRBlocks: 4
; VGPRBlocks: 8
; NumSGPRsForWavesPerEU: 34
; NumVGPRsForWavesPerEU: 68
; AccumOffset: 68
; Occupancy: 3
; WaveLimiterHint : 1
; COMPUTE_PGM_RSRC2:SCRATCH_EN: 0
; COMPUTE_PGM_RSRC2:USER_SGPR: 8
; COMPUTE_PGM_RSRC2:TRAP_HANDLER: 0
; COMPUTE_PGM_RSRC2:TGID_X_EN: 1
; COMPUTE_PGM_RSRC2:TGID_Y_EN: 0
; COMPUTE_PGM_RSRC2:TGID_Z_EN: 0
; COMPUTE_PGM_RSRC2:TIDIG_COMP_CNT: 2
; COMPUTE_PGM_RSRC3_GFX90A:ACCUM_OFFSET: 16
; COMPUTE_PGM_RSRC3_GFX90A:TG_SPLIT: 0
	.section	.text._ZN9rocsparseL39bsrgeam_wf_per_row_multipass_2_3_kernelILj256ELj2ELj64E21rocsparse_complex_numIdEEEv20rocsparse_direction_iiiNS_24const_host_device_scalarIT2_EEPKiS8_PKS5_S6_S8_S8_SA_S8_PiPS5_21rocsparse_index_base_SD_SD_b,"axG",@progbits,_ZN9rocsparseL39bsrgeam_wf_per_row_multipass_2_3_kernelILj256ELj2ELj64E21rocsparse_complex_numIdEEEv20rocsparse_direction_iiiNS_24const_host_device_scalarIT2_EEPKiS8_PKS5_S6_S8_S8_SA_S8_PiPS5_21rocsparse_index_base_SD_SD_b,comdat
	.globl	_ZN9rocsparseL39bsrgeam_wf_per_row_multipass_2_3_kernelILj256ELj2ELj64E21rocsparse_complex_numIdEEEv20rocsparse_direction_iiiNS_24const_host_device_scalarIT2_EEPKiS8_PKS5_S6_S8_S8_SA_S8_PiPS5_21rocsparse_index_base_SD_SD_b ; -- Begin function _ZN9rocsparseL39bsrgeam_wf_per_row_multipass_2_3_kernelILj256ELj2ELj64E21rocsparse_complex_numIdEEEv20rocsparse_direction_iiiNS_24const_host_device_scalarIT2_EEPKiS8_PKS5_S6_S8_S8_SA_S8_PiPS5_21rocsparse_index_base_SD_SD_b
	.p2align	8
	.type	_ZN9rocsparseL39bsrgeam_wf_per_row_multipass_2_3_kernelILj256ELj2ELj64E21rocsparse_complex_numIdEEEv20rocsparse_direction_iiiNS_24const_host_device_scalarIT2_EEPKiS8_PKS5_S6_S8_S8_SA_S8_PiPS5_21rocsparse_index_base_SD_SD_b,@function
_ZN9rocsparseL39bsrgeam_wf_per_row_multipass_2_3_kernelILj256ELj2ELj64E21rocsparse_complex_numIdEEEv20rocsparse_direction_iiiNS_24const_host_device_scalarIT2_EEPKiS8_PKS5_S6_S8_S8_SA_S8_PiPS5_21rocsparse_index_base_SD_SD_b: ; @_ZN9rocsparseL39bsrgeam_wf_per_row_multipass_2_3_kernelILj256ELj2ELj64E21rocsparse_complex_numIdEEEv20rocsparse_direction_iiiNS_24const_host_device_scalarIT2_EEPKiS8_PKS5_S6_S8_S8_SA_S8_PiPS5_21rocsparse_index_base_SD_SD_b
; %bb.0:
	s_load_dwordx4 s[12:15], s[6:7], 0x78
	s_load_dwordx4 s[20:23], s[6:7], 0x10
	;; [unrolled: 1-line block ×3, first 2 shown]
	s_mov_b64 s[2:3], src_shared_base
	s_load_dwordx2 s[4:5], s[4:5], 0x4
	s_waitcnt lgkmcnt(0)
	s_bitcmp1_b32 s15, 0
	s_cselect_b64 s[0:1], -1, 0
	s_and_b64 vcc, s[0:1], exec
	s_cselect_b32 s2, s3, s21
	s_lshr_b32 s4, s4, 16
	v_and_b32_e32 v16, 0x3ff, v0
	s_mul_i32 s4, s4, s5
	v_mul_lo_u32 v1, s4, v16
	v_bfe_u32 v2, v0, 10, 10
	v_mad_u32_u24 v1, v2, s5, v1
	v_bfe_u32 v0, v0, 20, 10
	v_add_lshl_u32 v5, v1, v0, 3
	v_mov_b32_e32 v4, s20
	v_add_u32_e32 v6, 0x4900, v5
	v_pk_mov_b32 v[0:1], s[20:21], s[20:21] op_sel:[0,1]
	v_pk_mov_b32 v[2:3], s[16:17], s[16:17] op_sel:[0,1]
	v_add_u32_e32 v7, 0x100, v5
	ds_write2st64_b64 v7, v[2:3], v[0:1] offset0:32 offset1:36
	v_cndmask_b32_e64 v0, v4, v6, s[0:1]
	v_mov_b32_e32 v1, s2
	flat_load_dwordx2 v[8:9], v[0:1]
	s_xor_b64 s[4:5], s[0:1], -1
	v_add_u32_e32 v0, 0x4100, v5
	v_pk_mov_b32 v[10:11], s[22:23], s[22:23] op_sel:[0,1]
	s_cbranch_vccnz .LBB25_2
; %bb.1:
	v_pk_mov_b32 v[2:3], s[20:21], s[20:21] op_sel:[0,1]
	flat_load_dwordx2 v[10:11], v[2:3] offset:8
.LBB25_2:
	s_and_b64 s[10:11], s[0:1], exec
	s_cselect_b32 s2, s3, s17
	v_mov_b32_e32 v1, s16
	v_cndmask_b32_e64 v0, v1, v0, s[0:1]
	v_mov_b32_e32 v1, s2
	flat_load_dwordx2 v[12:13], v[0:1]
	s_andn2_b64 vcc, exec, s[4:5]
	v_pk_mov_b32 v[14:15], s[18:19], s[18:19] op_sel:[0,1]
	s_cbranch_vccnz .LBB25_4
; %bb.3:
	v_pk_mov_b32 v[0:1], s[16:17], s[16:17] op_sel:[0,1]
	flat_load_dwordx2 v[14:15], v[0:1] offset:8
.LBB25_4:
	s_load_dwordx4 s[16:19], s[6:7], 0x0
	s_lshl_b32 s0, s8, 2
	v_lshrrev_b32_e32 v17, 6, v16
	s_and_b32 s0, s0, 0x3fffffc
	v_or_b32_e32 v0, s0, v17
	s_waitcnt lgkmcnt(0)
	v_cmp_gt_i32_e32 vcc, s17, v0
	s_and_saveexec_b64 s[0:1], vcc
	s_cbranch_execz .LBB25_39
; %bb.5:
	s_load_dwordx4 s[8:11], s[6:7], 0x20
	s_load_dwordx4 s[20:23], s[6:7], 0x48
	s_load_dwordx2 s[0:1], s[6:7], 0x60
	v_lshlrev_b32_e32 v4, 2, v0
	s_waitcnt lgkmcnt(0)
	global_load_dwordx2 v[0:1], v4, s[8:9]
	global_load_dwordx2 v[2:3], v4, s[20:21]
	global_load_dword v18, v4, s[0:1]
	s_waitcnt vmcnt(0)
	v_subrev_u32_e32 v4, s12, v0
	v_cmp_lt_i32_e32 vcc, v0, v1
	v_mov_b32_e32 v0, s18
	s_and_saveexec_b64 s[0:1], vcc
	s_cbranch_execz .LBB25_7
; %bb.6:
	v_ashrrev_i32_e32 v5, 31, v4
	v_lshlrev_b64 v[6:7], 2, v[4:5]
	v_mov_b32_e32 v0, s11
	v_add_co_u32_e32 v6, vcc, s10, v6
	v_addc_co_u32_e32 v7, vcc, v0, v7, vcc
	global_load_dword v0, v[6:7], off
	s_waitcnt vmcnt(0)
	v_subrev_u32_e32 v0, s12, v0
.LBB25_7:
	s_or_b64 exec, exec, s[0:1]
	s_load_dwordx4 s[24:27], s[6:7], 0x68
	s_load_dwordx2 s[8:9], s[6:7], 0x58
	s_load_dwordx2 s[20:21], s[6:7], 0x30
	v_subrev_u32_e32 v6, s13, v2
	v_cmp_lt_i32_e32 vcc, v2, v3
	v_mov_b32_e32 v2, s18
	s_and_saveexec_b64 s[0:1], vcc
	s_cbranch_execz .LBB25_9
; %bb.8:
	v_ashrrev_i32_e32 v7, 31, v6
	v_lshlrev_b64 v[20:21], 2, v[6:7]
	v_mov_b32_e32 v2, s23
	v_add_co_u32_e32 v20, vcc, s22, v20
	v_addc_co_u32_e32 v21, vcc, v2, v21, vcc
	global_load_dword v2, v[20:21], off
	s_waitcnt vmcnt(0)
	v_subrev_u32_e32 v2, s13, v2
.LBB25_9:
	s_or_b64 exec, exec, s[0:1]
	v_min_i32_e32 v39, v2, v0
	v_mbcnt_lo_u32_b32 v0, -1, 0
	v_and_b32_e32 v5, 0xc0, v16
	v_subrev_u32_e32 v28, s12, v1
	v_and_b32_e32 v1, 63, v16
	v_mbcnt_hi_u32_b32 v0, -1, v0
	v_or_b32_e32 v26, 0x4000, v5
	v_and_b32_e32 v2, 64, v0
	v_xor_b32_e32 v5, 63, v1
	v_add_u32_e32 v2, 64, v2
	v_lshrrev_b64 v[22:23], v5, -1
	v_xor_b32_e32 v5, 32, v0
	v_cmp_lt_i32_e64 s[0:1], v5, v2
	v_cndmask_b32_e64 v5, v0, v5, s[0:1]
	v_lshlrev_b32_e32 v33, 2, v5
	v_xor_b32_e32 v5, 16, v0
	v_cmp_lt_i32_e64 s[0:1], v5, v2
	v_cndmask_b32_e64 v5, v0, v5, s[0:1]
	v_lshlrev_b32_e32 v35, 2, v5
	;; [unrolled: 4-line block ×5, first 2 shown]
	s_cmp_eq_u32 s16, 0
	v_lshlrev_b32_e32 v38, 2, v5
	v_xor_b32_e32 v5, 1, v0
	s_mov_b32 s4, 0
	v_lshl_or_b32 v31, v1, 6, v27
	s_cselect_b64 vcc, -1, 0
	s_cmp_lg_u32 s16, 0
	v_cmp_lt_i32_e64 s[0:1], v5, v2
	v_subrev_u32_e32 v29, s13, v3
	v_add_u32_e32 v16, v4, v1
	v_or_b32_e32 v3, 16, v31
	v_or_b32_e32 v4, 32, v31
	v_cndmask_b32_e64 v0, v0, v5, s[0:1]
	s_mov_b32 s5, s4
	s_cselect_b64 s[0:1], -1, 0
	v_subrev_u32_e32 v30, s14, v18
	v_add_u32_e32 v18, v6, v1
	v_add_u32_e32 v32, s14, v1
	v_lshlrev_b32_e32 v40, 2, v0
	v_cndmask_b32_e32 v41, v4, v3, vcc
	v_cndmask_b32_e32 v42, v3, v4, vcc
	v_add_u32_e32 v43, v26, v1
	s_mov_b32 s6, s4
	s_mov_b32 s7, s4
	v_pk_mov_b32 v[0:1], s[4:5], s[4:5] op_sel:[0,1]
	v_cndmask_b32_e64 v4, 0, 1, s[0:1]
	v_mov_b32_e32 v21, 0
	v_or_b32_e32 v34, 48, v31
	s_mov_b64 s[14:15], 0
	v_pk_mov_b32 v[2:3], s[6:7], s[6:7] op_sel:[0,1]
	v_cmp_ne_u32_e64 s[0:1], 1, v4
	v_mov_b32_e32 v44, 1
	s_branch .LBB25_11
.LBB25_10:                              ;   in Loop: Header=BB25_11 Depth=1
	s_or_b64 exec, exec, s[4:5]
	ds_bpermute_b32 v4, v33, v45
	s_bcnt1_i32_b64 s2, vcc
	v_add_u32_e32 v30, s2, v30
	s_waitcnt lgkmcnt(0)
	v_min_i32_e32 v4, v4, v45
	ds_bpermute_b32 v5, v35, v4
	s_waitcnt lgkmcnt(0)
	v_min_i32_e32 v4, v5, v4
	ds_bpermute_b32 v5, v36, v4
	;; [unrolled: 3-line block ×5, first 2 shown]
	s_waitcnt lgkmcnt(0)
	v_min_i32_e32 v39, v5, v4
	v_cmp_le_i32_e32 vcc, s18, v39
	s_or_b64 s[14:15], vcc, s[14:15]
	s_andn2_b64 exec, exec, s[14:15]
	s_cbranch_execz .LBB25_39
.LBB25_11:                              ; =>This Loop Header: Depth=1
                                        ;     Child Loop BB25_14 Depth 2
                                        ;     Child Loop BB25_27 Depth 2
	v_cmp_lt_i32_e32 vcc, v16, v28
	v_mov_b32_e32 v45, s18
	ds_write_b8 v43, v21
	ds_write_b128 v31, v[0:3]
	ds_write_b128 v31, v[0:3] offset:16
	ds_write_b128 v31, v[0:3] offset:32
	;; [unrolled: 1-line block ×3, first 2 shown]
	s_waitcnt lgkmcnt(0)
	s_and_saveexec_b64 s[4:5], vcc
	s_cbranch_execz .LBB25_24
; %bb.12:                               ;   in Loop: Header=BB25_11 Depth=1
	v_lshlrev_b32_e32 v20, 2, v16
	s_mov_b64 s[6:7], 0
	v_mov_b32_e32 v45, s18
	s_branch .LBB25_14
.LBB25_13:                              ;   in Loop: Header=BB25_14 Depth=2
	s_or_b64 exec, exec, s[28:29]
	s_and_b64 s[2:3], exec, s[16:17]
	s_or_b64 s[6:7], s[2:3], s[6:7]
	s_andn2_b64 exec, exec, s[6:7]
	s_cbranch_execz .LBB25_23
.LBB25_14:                              ;   Parent Loop BB25_11 Depth=1
                                        ; =>  This Inner Loop Header: Depth=2
	v_ashrrev_i32_e32 v17, 31, v16
	v_lshlrev_b64 v[4:5], 2, v[16:17]
	v_mov_b32_e32 v6, s11
	v_add_co_u32_e32 v4, vcc, s10, v4
	v_addc_co_u32_e32 v5, vcc, v6, v5, vcc
	global_load_dword v4, v[4:5], off
	s_waitcnt vmcnt(0)
	v_subrev_u32_e32 v4, s12, v4
	v_sub_u32_e32 v6, v4, v39
	v_cmp_gt_u32_e64 s[2:3], 64, v6
	v_cmp_lt_u32_e32 vcc, 63, v6
	s_and_saveexec_b64 s[16:17], vcc
	s_xor_b64 s[16:17], exec, s[16:17]
; %bb.15:                               ;   in Loop: Header=BB25_14 Depth=2
	v_min_i32_e32 v45, v4, v45
                                        ; implicit-def: $vgpr6
; %bb.16:                               ;   in Loop: Header=BB25_14 Depth=2
	s_andn2_saveexec_b64 s[16:17], s[16:17]
	s_cbranch_execz .LBB25_21
; %bb.17:                               ;   in Loop: Header=BB25_14 Depth=2
	v_lshlrev_b64 v[4:5], 4, v[20:21]
	v_mov_b32_e32 v7, s21
	v_add_co_u32_e32 v4, vcc, s20, v4
	v_addc_co_u32_e32 v5, vcc, v7, v5, vcc
	global_load_dwordx4 v[46:49], v[4:5], off
	v_add_u32_e32 v7, v26, v6
	v_lshlrev_b32_e32 v6, 6, v6
	v_add_u32_e32 v6, v27, v6
	s_and_b64 vcc, exec, s[0:1]
	ds_write_b8 v7, v44
	s_waitcnt vmcnt(0)
	v_mul_f64 v[50:51], v[48:49], -v[10:11]
	v_mul_f64 v[52:53], v[8:9], v[48:49]
	v_fmac_f64_e32 v[50:51], v[8:9], v[46:47]
	v_fmac_f64_e32 v[52:53], v[10:11], v[46:47]
	ds_write_b128 v6, v[50:53]
	s_cbranch_vccnz .LBB25_19
; %bb.18:                               ;   in Loop: Header=BB25_14 Depth=2
	global_load_dwordx4 v[46:49], v[4:5], off offset:32
	global_load_dwordx4 v[50:53], v[4:5], off offset:16
	;; [unrolled: 1-line block ×3, first 2 shown]
	s_waitcnt vmcnt(2)
	v_mul_f64 v[58:59], v[48:49], -v[10:11]
	v_mul_f64 v[60:61], v[8:9], v[48:49]
	s_waitcnt vmcnt(1)
	v_mul_f64 v[62:63], v[52:53], -v[10:11]
	v_mul_f64 v[64:65], v[8:9], v[52:53]
	;; [unrolled: 3-line block ×3, first 2 shown]
	v_fmac_f64_e32 v[58:59], v[8:9], v[46:47]
	v_fmac_f64_e32 v[60:61], v[10:11], v[46:47]
	;; [unrolled: 1-line block ×6, first 2 shown]
	ds_write_b128 v6, v[58:61] offset:16
	ds_write_b128 v6, v[62:65] offset:32
	;; [unrolled: 1-line block ×3, first 2 shown]
	s_cbranch_execz .LBB25_20
	s_branch .LBB25_21
.LBB25_19:                              ;   in Loop: Header=BB25_14 Depth=2
.LBB25_20:                              ;   in Loop: Header=BB25_14 Depth=2
	global_load_dwordx4 v[46:49], v[4:5], off offset:16
	global_load_dwordx4 v[50:53], v[4:5], off offset:32
	;; [unrolled: 1-line block ×3, first 2 shown]
	s_waitcnt vmcnt(2)
	v_mul_f64 v[58:59], v[48:49], -v[10:11]
	v_mul_f64 v[60:61], v[8:9], v[48:49]
	s_waitcnt vmcnt(1)
	v_mul_f64 v[62:63], v[52:53], -v[10:11]
	v_mul_f64 v[64:65], v[8:9], v[52:53]
	s_waitcnt vmcnt(0)
	v_mul_f64 v[66:67], v[56:57], -v[10:11]
	v_mul_f64 v[68:69], v[8:9], v[56:57]
	v_fmac_f64_e32 v[58:59], v[8:9], v[46:47]
	v_fmac_f64_e32 v[60:61], v[10:11], v[46:47]
	;; [unrolled: 1-line block ×6, first 2 shown]
	ds_write_b128 v6, v[58:61] offset:16
	ds_write_b128 v6, v[62:65] offset:32
	;; [unrolled: 1-line block ×3, first 2 shown]
.LBB25_21:                              ;   in Loop: Header=BB25_14 Depth=2
	s_or_b64 exec, exec, s[16:17]
	s_mov_b64 s[16:17], -1
	s_and_saveexec_b64 s[28:29], s[2:3]
	s_cbranch_execz .LBB25_13
; %bb.22:                               ;   in Loop: Header=BB25_14 Depth=2
	v_add_u32_e32 v16, 64, v16
	v_cmp_ge_i32_e32 vcc, v16, v28
	v_add_u32_e32 v20, 0x100, v20
	s_orn2_b64 s[16:17], vcc, exec
	s_branch .LBB25_13
.LBB25_23:                              ;   in Loop: Header=BB25_11 Depth=1
	s_or_b64 exec, exec, s[6:7]
.LBB25_24:                              ;   in Loop: Header=BB25_11 Depth=1
	s_or_b64 exec, exec, s[4:5]
	v_cmp_lt_i32_e32 vcc, v18, v29
	s_waitcnt lgkmcnt(0)
	s_and_saveexec_b64 s[4:5], vcc
	s_cbranch_execz .LBB25_37
; %bb.25:                               ;   in Loop: Header=BB25_11 Depth=1
	v_lshlrev_b32_e32 v20, 2, v18
	s_mov_b64 s[6:7], 0
	s_branch .LBB25_27
.LBB25_26:                              ;   in Loop: Header=BB25_27 Depth=2
	s_or_b64 exec, exec, s[28:29]
	s_and_b64 s[2:3], exec, s[16:17]
	s_or_b64 s[6:7], s[2:3], s[6:7]
	s_andn2_b64 exec, exec, s[6:7]
	s_cbranch_execz .LBB25_36
.LBB25_27:                              ;   Parent Loop BB25_11 Depth=1
                                        ; =>  This Inner Loop Header: Depth=2
	v_ashrrev_i32_e32 v19, 31, v18
	s_waitcnt lgkmcnt(1)
	v_lshlrev_b64 v[4:5], 2, v[18:19]
	v_mov_b32_e32 v6, s23
	v_add_co_u32_e32 v4, vcc, s22, v4
	v_addc_co_u32_e32 v5, vcc, v6, v5, vcc
	global_load_dword v4, v[4:5], off
	s_waitcnt vmcnt(0)
	v_subrev_u32_e32 v5, s13, v4
	v_sub_u32_e32 v4, v5, v39
	v_cmp_gt_u32_e64 s[2:3], 64, v4
	v_cmp_lt_u32_e32 vcc, 63, v4
	s_and_saveexec_b64 s[16:17], vcc
	s_xor_b64 s[16:17], exec, s[16:17]
; %bb.28:                               ;   in Loop: Header=BB25_27 Depth=2
	v_min_i32_e32 v45, v5, v45
                                        ; implicit-def: $vgpr4
; %bb.29:                               ;   in Loop: Header=BB25_27 Depth=2
	s_andn2_saveexec_b64 s[16:17], s[16:17]
	s_cbranch_execz .LBB25_34
; %bb.30:                               ;   in Loop: Header=BB25_27 Depth=2
	v_lshlrev_b64 v[6:7], 4, v[20:21]
	v_mov_b32_e32 v5, s9
	v_add_co_u32_e32 v24, vcc, s8, v6
	v_addc_co_u32_e32 v25, vcc, v5, v7, vcc
	global_load_dwordx4 v[46:49], v[24:25], off
	v_lshlrev_b32_e32 v5, 6, v4
	v_add_u32_e32 v17, v27, v5
	ds_read_b128 v[50:53], v17
	v_add_u32_e32 v4, v26, v4
	ds_write_b8 v4, v44
	ds_read_b128 v[4:7], v17 offset:16
	s_and_b64 vcc, exec, s[0:1]
	s_waitcnt vmcnt(0) lgkmcnt(2)
	v_fmac_f64_e32 v[50:51], v[12:13], v[46:47]
	v_fmac_f64_e32 v[52:53], v[14:15], v[46:47]
	v_fma_f64 v[50:51], -v[14:15], v[48:49], v[50:51]
	v_fmac_f64_e32 v[52:53], v[12:13], v[48:49]
	ds_write_b128 v17, v[50:53]
	s_cbranch_vccnz .LBB25_32
; %bb.31:                               ;   in Loop: Header=BB25_27 Depth=2
	global_load_dwordx4 v[46:49], v[24:25], off offset:32
	global_load_dwordx4 v[50:53], v[24:25], off offset:16
	;; [unrolled: 1-line block ×3, first 2 shown]
	ds_read_b128 v[58:61], v17 offset:32
	ds_read_b128 v[62:65], v17 offset:48
	s_waitcnt vmcnt(2) lgkmcnt(3)
	v_fma_f64 v[66:67], v[12:13], v[46:47], v[4:5]
	v_fma_f64 v[68:69], v[14:15], v[46:47], v[6:7]
	s_waitcnt vmcnt(1) lgkmcnt(1)
	v_fmac_f64_e32 v[58:59], v[12:13], v[50:51]
	v_fmac_f64_e32 v[60:61], v[14:15], v[50:51]
	s_waitcnt vmcnt(0) lgkmcnt(0)
	v_fmac_f64_e32 v[62:63], v[12:13], v[54:55]
	v_fmac_f64_e32 v[64:65], v[14:15], v[54:55]
	v_fma_f64 v[66:67], -v[14:15], v[48:49], v[66:67]
	v_fmac_f64_e32 v[68:69], v[12:13], v[48:49]
	v_fma_f64 v[58:59], -v[14:15], v[52:53], v[58:59]
	;; [unrolled: 2-line block ×3, first 2 shown]
	v_fmac_f64_e32 v[64:65], v[12:13], v[56:57]
	ds_write_b128 v17, v[66:69] offset:16
	ds_write_b128 v17, v[58:61] offset:32
	;; [unrolled: 1-line block ×3, first 2 shown]
	s_cbranch_execz .LBB25_33
	s_branch .LBB25_34
.LBB25_32:                              ;   in Loop: Header=BB25_27 Depth=2
.LBB25_33:                              ;   in Loop: Header=BB25_27 Depth=2
	global_load_dwordx4 v[46:49], v[24:25], off offset:16
	global_load_dwordx4 v[50:53], v[24:25], off offset:32
	;; [unrolled: 1-line block ×3, first 2 shown]
	ds_read_b128 v[58:61], v17 offset:32
	ds_read_b128 v[62:65], v17 offset:48
	s_waitcnt vmcnt(2) lgkmcnt(3)
	v_fmac_f64_e32 v[4:5], v[12:13], v[46:47]
	v_fmac_f64_e32 v[6:7], v[14:15], v[46:47]
	s_waitcnt vmcnt(1) lgkmcnt(1)
	v_fmac_f64_e32 v[58:59], v[12:13], v[50:51]
	v_fmac_f64_e32 v[60:61], v[14:15], v[50:51]
	;; [unrolled: 3-line block ×3, first 2 shown]
	v_fma_f64 v[4:5], -v[14:15], v[48:49], v[4:5]
	v_fmac_f64_e32 v[6:7], v[12:13], v[48:49]
	v_fma_f64 v[58:59], -v[14:15], v[52:53], v[58:59]
	v_fmac_f64_e32 v[60:61], v[12:13], v[52:53]
	;; [unrolled: 2-line block ×3, first 2 shown]
	ds_write_b128 v17, v[4:7] offset:16
	ds_write_b128 v17, v[58:61] offset:32
	;; [unrolled: 1-line block ×3, first 2 shown]
.LBB25_34:                              ;   in Loop: Header=BB25_27 Depth=2
	s_or_b64 exec, exec, s[16:17]
	s_mov_b64 s[16:17], -1
	s_and_saveexec_b64 s[28:29], s[2:3]
	s_cbranch_execz .LBB25_26
; %bb.35:                               ;   in Loop: Header=BB25_27 Depth=2
	v_add_u32_e32 v18, 64, v18
	v_cmp_ge_i32_e32 vcc, v18, v29
	v_add_u32_e32 v20, 0x100, v20
	s_orn2_b64 s[16:17], vcc, exec
	s_branch .LBB25_26
.LBB25_36:                              ;   in Loop: Header=BB25_11 Depth=1
	s_or_b64 exec, exec, s[6:7]
.LBB25_37:                              ;   in Loop: Header=BB25_11 Depth=1
	s_or_b64 exec, exec, s[4:5]
	s_waitcnt lgkmcnt(0)
	ds_read_u8 v4, v43
	s_waitcnt lgkmcnt(0)
	v_and_b32_e32 v5, 1, v4
	v_cmp_eq_u32_e64 s[2:3], 1, v5
	v_cmp_ne_u16_e32 vcc, 0, v4
	s_and_saveexec_b64 s[4:5], s[2:3]
	s_cbranch_execz .LBB25_10
; %bb.38:                               ;   in Loop: Header=BB25_11 Depth=1
	v_and_b32_e32 v5, vcc_lo, v22
	v_and_b32_e32 v4, vcc_hi, v23
	v_bcnt_u32_b32 v5, v5, 0
	v_bcnt_u32_b32 v4, v4, v5
	v_add3_u32 v4, v30, v4, -1
	v_ashrrev_i32_e32 v5, 31, v4
	v_lshlrev_b64 v[6:7], 2, v[4:5]
	v_mov_b32_e32 v5, s25
	v_add_co_u32_e64 v6, s[2:3], s24, v6
	v_add_u32_e32 v17, v32, v39
	v_addc_co_u32_e64 v7, s[2:3], v5, v7, s[2:3]
	global_store_dword v[6:7], v17, off
	v_lshlrev_b32_e32 v20, 2, v4
	ds_read2_b64 v[4:7], v31 offset1:1
	ds_read2_b64 v[46:49], v41 offset1:1
	;; [unrolled: 1-line block ×4, first 2 shown]
	v_lshlrev_b64 v[24:25], 4, v[20:21]
	v_mov_b32_e32 v17, s27
	v_add_co_u32_e64 v24, s[2:3], s26, v24
	v_addc_co_u32_e64 v25, s[2:3], v17, v25, s[2:3]
	s_waitcnt lgkmcnt(3)
	global_store_dwordx4 v[24:25], v[4:7], off
	s_waitcnt lgkmcnt(2)
	global_store_dwordx4 v[24:25], v[46:49], off offset:16
	s_waitcnt lgkmcnt(1)
	global_store_dwordx4 v[24:25], v[50:53], off offset:32
	;; [unrolled: 2-line block ×3, first 2 shown]
	s_branch .LBB25_10
.LBB25_39:
	s_endpgm
	.section	.rodata,"a",@progbits
	.p2align	6, 0x0
	.amdhsa_kernel _ZN9rocsparseL39bsrgeam_wf_per_row_multipass_2_3_kernelILj256ELj2ELj64E21rocsparse_complex_numIdEEEv20rocsparse_direction_iiiNS_24const_host_device_scalarIT2_EEPKiS8_PKS5_S6_S8_S8_SA_S8_PiPS5_21rocsparse_index_base_SD_SD_b
		.amdhsa_group_segment_fixed_size 20736
		.amdhsa_private_segment_fixed_size 0
		.amdhsa_kernarg_size 136
		.amdhsa_user_sgpr_count 8
		.amdhsa_user_sgpr_private_segment_buffer 1
		.amdhsa_user_sgpr_dispatch_ptr 1
		.amdhsa_user_sgpr_queue_ptr 0
		.amdhsa_user_sgpr_kernarg_segment_ptr 1
		.amdhsa_user_sgpr_dispatch_id 0
		.amdhsa_user_sgpr_flat_scratch_init 0
		.amdhsa_user_sgpr_kernarg_preload_length 0
		.amdhsa_user_sgpr_kernarg_preload_offset 0
		.amdhsa_user_sgpr_private_segment_size 0
		.amdhsa_uses_dynamic_stack 0
		.amdhsa_system_sgpr_private_segment_wavefront_offset 0
		.amdhsa_system_sgpr_workgroup_id_x 1
		.amdhsa_system_sgpr_workgroup_id_y 0
		.amdhsa_system_sgpr_workgroup_id_z 0
		.amdhsa_system_sgpr_workgroup_info 0
		.amdhsa_system_vgpr_workitem_id 2
		.amdhsa_next_free_vgpr 70
		.amdhsa_next_free_sgpr 30
		.amdhsa_accum_offset 72
		.amdhsa_reserve_vcc 1
		.amdhsa_reserve_flat_scratch 0
		.amdhsa_float_round_mode_32 0
		.amdhsa_float_round_mode_16_64 0
		.amdhsa_float_denorm_mode_32 3
		.amdhsa_float_denorm_mode_16_64 3
		.amdhsa_dx10_clamp 1
		.amdhsa_ieee_mode 1
		.amdhsa_fp16_overflow 0
		.amdhsa_tg_split 0
		.amdhsa_exception_fp_ieee_invalid_op 0
		.amdhsa_exception_fp_denorm_src 0
		.amdhsa_exception_fp_ieee_div_zero 0
		.amdhsa_exception_fp_ieee_overflow 0
		.amdhsa_exception_fp_ieee_underflow 0
		.amdhsa_exception_fp_ieee_inexact 0
		.amdhsa_exception_int_div_zero 0
	.end_amdhsa_kernel
	.section	.text._ZN9rocsparseL39bsrgeam_wf_per_row_multipass_2_3_kernelILj256ELj2ELj64E21rocsparse_complex_numIdEEEv20rocsparse_direction_iiiNS_24const_host_device_scalarIT2_EEPKiS8_PKS5_S6_S8_S8_SA_S8_PiPS5_21rocsparse_index_base_SD_SD_b,"axG",@progbits,_ZN9rocsparseL39bsrgeam_wf_per_row_multipass_2_3_kernelILj256ELj2ELj64E21rocsparse_complex_numIdEEEv20rocsparse_direction_iiiNS_24const_host_device_scalarIT2_EEPKiS8_PKS5_S6_S8_S8_SA_S8_PiPS5_21rocsparse_index_base_SD_SD_b,comdat
.Lfunc_end25:
	.size	_ZN9rocsparseL39bsrgeam_wf_per_row_multipass_2_3_kernelILj256ELj2ELj64E21rocsparse_complex_numIdEEEv20rocsparse_direction_iiiNS_24const_host_device_scalarIT2_EEPKiS8_PKS5_S6_S8_S8_SA_S8_PiPS5_21rocsparse_index_base_SD_SD_b, .Lfunc_end25-_ZN9rocsparseL39bsrgeam_wf_per_row_multipass_2_3_kernelILj256ELj2ELj64E21rocsparse_complex_numIdEEEv20rocsparse_direction_iiiNS_24const_host_device_scalarIT2_EEPKiS8_PKS5_S6_S8_S8_SA_S8_PiPS5_21rocsparse_index_base_SD_SD_b
                                        ; -- End function
	.section	.AMDGPU.csdata,"",@progbits
; Kernel info:
; codeLenInByte = 2392
; NumSgprs: 34
; NumVgprs: 70
; NumAgprs: 0
; TotalNumVgprs: 70
; ScratchSize: 0
; MemoryBound: 0
; FloatMode: 240
; IeeeMode: 1
; LDSByteSize: 20736 bytes/workgroup (compile time only)
; SGPRBlocks: 4
; VGPRBlocks: 8
; NumSGPRsForWavesPerEU: 34
; NumVGPRsForWavesPerEU: 70
; AccumOffset: 72
; Occupancy: 3
; WaveLimiterHint : 1
; COMPUTE_PGM_RSRC2:SCRATCH_EN: 0
; COMPUTE_PGM_RSRC2:USER_SGPR: 8
; COMPUTE_PGM_RSRC2:TRAP_HANDLER: 0
; COMPUTE_PGM_RSRC2:TGID_X_EN: 1
; COMPUTE_PGM_RSRC2:TGID_Y_EN: 0
; COMPUTE_PGM_RSRC2:TGID_Z_EN: 0
; COMPUTE_PGM_RSRC2:TIDIG_COMP_CNT: 2
; COMPUTE_PGM_RSRC3_GFX90A:ACCUM_OFFSET: 17
; COMPUTE_PGM_RSRC3_GFX90A:TG_SPLIT: 0
	.section	.text._ZN9rocsparseL39bsrgeam_wf_per_row_multipass_2_3_kernelILj256ELj3ELj32E21rocsparse_complex_numIdEEEv20rocsparse_direction_iiiNS_24const_host_device_scalarIT2_EEPKiS8_PKS5_S6_S8_S8_SA_S8_PiPS5_21rocsparse_index_base_SD_SD_b,"axG",@progbits,_ZN9rocsparseL39bsrgeam_wf_per_row_multipass_2_3_kernelILj256ELj3ELj32E21rocsparse_complex_numIdEEEv20rocsparse_direction_iiiNS_24const_host_device_scalarIT2_EEPKiS8_PKS5_S6_S8_S8_SA_S8_PiPS5_21rocsparse_index_base_SD_SD_b,comdat
	.globl	_ZN9rocsparseL39bsrgeam_wf_per_row_multipass_2_3_kernelILj256ELj3ELj32E21rocsparse_complex_numIdEEEv20rocsparse_direction_iiiNS_24const_host_device_scalarIT2_EEPKiS8_PKS5_S6_S8_S8_SA_S8_PiPS5_21rocsparse_index_base_SD_SD_b ; -- Begin function _ZN9rocsparseL39bsrgeam_wf_per_row_multipass_2_3_kernelILj256ELj3ELj32E21rocsparse_complex_numIdEEEv20rocsparse_direction_iiiNS_24const_host_device_scalarIT2_EEPKiS8_PKS5_S6_S8_S8_SA_S8_PiPS5_21rocsparse_index_base_SD_SD_b
	.p2align	8
	.type	_ZN9rocsparseL39bsrgeam_wf_per_row_multipass_2_3_kernelILj256ELj3ELj32E21rocsparse_complex_numIdEEEv20rocsparse_direction_iiiNS_24const_host_device_scalarIT2_EEPKiS8_PKS5_S6_S8_S8_SA_S8_PiPS5_21rocsparse_index_base_SD_SD_b,@function
_ZN9rocsparseL39bsrgeam_wf_per_row_multipass_2_3_kernelILj256ELj3ELj32E21rocsparse_complex_numIdEEEv20rocsparse_direction_iiiNS_24const_host_device_scalarIT2_EEPKiS8_PKS5_S6_S8_S8_SA_S8_PiPS5_21rocsparse_index_base_SD_SD_b: ; @_ZN9rocsparseL39bsrgeam_wf_per_row_multipass_2_3_kernelILj256ELj3ELj32E21rocsparse_complex_numIdEEEv20rocsparse_direction_iiiNS_24const_host_device_scalarIT2_EEPKiS8_PKS5_S6_S8_S8_SA_S8_PiPS5_21rocsparse_index_base_SD_SD_b
; %bb.0:
	s_load_dwordx4 s[12:15], s[6:7], 0x78
	s_load_dwordx4 s[20:23], s[6:7], 0x10
	;; [unrolled: 1-line block ×3, first 2 shown]
	s_mov_b64 s[2:3], src_shared_base
	s_load_dwordx2 s[4:5], s[4:5], 0x4
	s_waitcnt lgkmcnt(0)
	s_bitcmp1_b32 s15, 0
	s_cselect_b64 s[0:1], -1, 0
	s_and_b64 vcc, s[0:1], exec
	s_cselect_b32 s2, s3, s21
	s_lshr_b32 s4, s4, 16
	v_and_b32_e32 v8, 0x3ff, v0
	s_mul_i32 s4, s4, s5
	v_mul_lo_u32 v1, s4, v8
	v_bfe_u32 v2, v0, 10, 10
	v_mad_u32_u24 v1, v2, s5, v1
	v_bfe_u32 v0, v0, 20, 10
	v_add_lshl_u32 v5, v1, v0, 3
	v_mov_b32_e32 v4, s20
	v_add_u32_e32 v6, 0x9900, v5
	v_pk_mov_b32 v[0:1], s[20:21], s[20:21] op_sel:[0,1]
	v_pk_mov_b32 v[2:3], s[16:17], s[16:17] op_sel:[0,1]
	v_add_u32_e32 v7, 0x100, v5
	ds_write2st64_b64 v7, v[2:3], v[0:1] offset0:72 offset1:76
	v_cndmask_b32_e64 v0, v4, v6, s[0:1]
	v_mov_b32_e32 v1, s2
	flat_load_dwordx2 v[16:17], v[0:1]
	s_xor_b64 s[4:5], s[0:1], -1
	v_add_u32_e32 v0, 0x9100, v5
	v_pk_mov_b32 v[18:19], s[22:23], s[22:23] op_sel:[0,1]
	s_cbranch_vccnz .LBB26_2
; %bb.1:
	v_pk_mov_b32 v[2:3], s[20:21], s[20:21] op_sel:[0,1]
	flat_load_dwordx2 v[18:19], v[2:3] offset:8
.LBB26_2:
	s_and_b64 s[10:11], s[0:1], exec
	s_cselect_b32 s2, s3, s17
	v_mov_b32_e32 v1, s16
	v_cndmask_b32_e64 v0, v1, v0, s[0:1]
	v_mov_b32_e32 v1, s2
	flat_load_dwordx2 v[20:21], v[0:1]
	s_andn2_b64 vcc, exec, s[4:5]
	v_pk_mov_b32 v[22:23], s[18:19], s[18:19] op_sel:[0,1]
	s_cbranch_vccnz .LBB26_4
; %bb.3:
	v_pk_mov_b32 v[0:1], s[16:17], s[16:17] op_sel:[0,1]
	flat_load_dwordx2 v[22:23], v[0:1] offset:8
.LBB26_4:
	s_load_dwordx4 s[16:19], s[6:7], 0x0
	s_lshl_b32 s0, s8, 3
	v_lshrrev_b32_e32 v9, 5, v8
	s_and_b32 s0, s0, 0x7fffff8
	v_or_b32_e32 v0, s0, v9
	s_waitcnt lgkmcnt(0)
	v_cmp_gt_i32_e32 vcc, s17, v0
	s_and_saveexec_b64 s[0:1], vcc
	s_cbranch_execz .LBB26_39
; %bb.5:
	s_load_dwordx4 s[8:11], s[6:7], 0x20
	s_load_dwordx4 s[20:23], s[6:7], 0x48
	s_load_dwordx2 s[0:1], s[6:7], 0x60
	v_lshlrev_b32_e32 v4, 2, v0
	s_waitcnt lgkmcnt(0)
	global_load_dwordx2 v[0:1], v4, s[8:9]
	global_load_dwordx2 v[2:3], v4, s[20:21]
	global_load_dword v10, v4, s[0:1]
	s_waitcnt vmcnt(0)
	v_subrev_u32_e32 v4, s12, v0
	v_cmp_lt_i32_e32 vcc, v0, v1
	v_mov_b32_e32 v0, s18
	s_and_saveexec_b64 s[0:1], vcc
	s_cbranch_execz .LBB26_7
; %bb.6:
	v_ashrrev_i32_e32 v5, 31, v4
	v_lshlrev_b64 v[6:7], 2, v[4:5]
	v_mov_b32_e32 v0, s11
	v_add_co_u32_e32 v6, vcc, s10, v6
	v_addc_co_u32_e32 v7, vcc, v0, v7, vcc
	global_load_dword v0, v[6:7], off
	s_waitcnt vmcnt(0)
	v_subrev_u32_e32 v0, s12, v0
.LBB26_7:
	s_or_b64 exec, exec, s[0:1]
	s_load_dwordx4 s[24:27], s[6:7], 0x68
	s_load_dwordx2 s[8:9], s[6:7], 0x58
	s_load_dwordx2 s[20:21], s[6:7], 0x30
	v_subrev_u32_e32 v6, s13, v2
	v_cmp_lt_i32_e32 vcc, v2, v3
	v_mov_b32_e32 v2, s18
	s_and_saveexec_b64 s[0:1], vcc
	s_cbranch_execz .LBB26_9
; %bb.8:
	v_ashrrev_i32_e32 v7, 31, v6
	v_lshlrev_b64 v[12:13], 2, v[6:7]
	v_mov_b32_e32 v2, s23
	v_add_co_u32_e32 v12, vcc, s22, v12
	v_addc_co_u32_e32 v13, vcc, v2, v13, vcc
	global_load_dword v2, v[12:13], off
	s_waitcnt vmcnt(0)
	v_subrev_u32_e32 v2, s13, v2
.LBB26_9:
	s_or_b64 exec, exec, s[0:1]
	v_and_b32_e32 v5, 0xe0, v8
	v_min_i32_e32 v68, v2, v0
	v_mbcnt_lo_u32_b32 v0, -1, 0
	v_or_b32_e32 v44, 0x9000, v5
	v_mul_u32_u24_e32 v5, 0x120, v9
	v_subrev_u32_e32 v46, s12, v1
	v_and_b32_e32 v1, 31, v8
	v_mbcnt_hi_u32_b32 v0, -1, v0
	v_lshlrev_b32_e32 v45, 4, v5
	v_and_b32_e32 v2, 64, v0
	v_xor_b32_e32 v5, 31, v1
	v_add_u32_e32 v2, 64, v2
	v_lshrrev_b32_e64 v50, v5, -1
	v_xor_b32_e32 v5, 16, v0
	v_cmp_lt_i32_e64 s[0:1], v5, v2
	v_xor_b32_e32 v9, 8, v0
	v_cndmask_b32_e64 v5, v0, v5, s[0:1]
	v_cmp_lt_i32_e64 s[0:1], v9, v2
	v_cndmask_b32_e64 v9, v0, v9, s[0:1]
	v_lshlrev_b32_e32 v55, 2, v9
	v_xor_b32_e32 v9, 4, v0
	v_cmp_lt_i32_e64 s[0:1], v9, v2
	v_cndmask_b32_e64 v9, v0, v9, s[0:1]
	v_lshlrev_b32_e32 v56, 2, v9
	v_xor_b32_e32 v9, 2, v0
	v_cmp_lt_i32_e64 s[0:1], v9, v2
	v_cndmask_b32_e64 v9, v0, v9, s[0:1]
	s_movk_i32 s19, 0x90
	s_cmp_eq_u32 s16, 0
	v_lshlrev_b32_e32 v57, 2, v9
	v_xor_b32_e32 v9, 1, v0
	v_mad_u32_u24 v49, v1, s19, v45
	s_mov_b32 s4, 0
	s_cselect_b64 vcc, -1, 0
	s_cmp_lg_u32 s16, 0
	v_cmp_lt_i32_e64 s[0:1], v9, v2
	v_subrev_u32_e32 v47, s13, v3
	v_add_u32_e32 v24, v4, v1
	v_add_u32_e32 v3, 16, v49
	;; [unrolled: 1-line block ×3, first 2 shown]
	v_cndmask_b32_e64 v0, v0, v9, s[0:1]
	s_mov_b32 s5, s4
	s_cselect_b64 s[0:1], -1, 0
	v_add_u32_e32 v26, v6, v1
	v_add_u32_e32 v51, s14, v1
	v_lshlrev_b32_e32 v52, 2, v5
	v_add_u32_e32 v5, 32, v49
	v_add_u32_e32 v6, 0x50, v49
	;; [unrolled: 1-line block ×4, first 2 shown]
	v_lshlrev_b32_e32 v58, 2, v0
	v_cndmask_b32_e32 v59, v4, v3, vcc
	v_cndmask_b32_e32 v61, v3, v4, vcc
	v_add_u32_e32 v65, v44, v1
	s_mov_b32 s6, s4
	s_mov_b32 s7, s4
	v_pk_mov_b32 v[0:1], s[4:5], s[4:5] op_sel:[0,1]
	v_cndmask_b32_e64 v4, 0, 1, s[0:1]
	v_subrev_u32_e32 v48, s14, v10
	v_mov_b32_e32 v29, 0
	v_add_u32_e32 v53, 64, v49
	v_add_u32_e32 v54, 0x80, v49
	v_cndmask_b32_e32 v60, v7, v5, vcc
	v_cndmask_b32_e32 v62, v8, v6, vcc
	;; [unrolled: 1-line block ×4, first 2 shown]
	s_mov_b64 s[14:15], 0
	v_pk_mov_b32 v[2:3], s[6:7], s[6:7] op_sel:[0,1]
	v_cmp_ne_u32_e64 s[0:1], 1, v4
	v_mov_b32_e32 v66, 1
	s_branch .LBB26_11
.LBB26_10:                              ;   in Loop: Header=BB26_11 Depth=1
	s_or_b64 exec, exec, s[4:5]
	ds_bpermute_b32 v4, v52, v67
	s_bcnt1_i32_b64 s2, vcc
	v_add_u32_e32 v48, s2, v48
	s_waitcnt lgkmcnt(0)
	v_min_i32_e32 v4, v4, v67
	ds_bpermute_b32 v5, v55, v4
	s_waitcnt lgkmcnt(0)
	v_min_i32_e32 v4, v5, v4
	ds_bpermute_b32 v5, v56, v4
	;; [unrolled: 3-line block ×4, first 2 shown]
	s_waitcnt lgkmcnt(0)
	v_min_i32_e32 v68, v5, v4
	v_cmp_le_i32_e32 vcc, s18, v68
	s_or_b64 s[14:15], vcc, s[14:15]
	s_andn2_b64 exec, exec, s[14:15]
	s_cbranch_execz .LBB26_39
.LBB26_11:                              ; =>This Loop Header: Depth=1
                                        ;     Child Loop BB26_14 Depth 2
                                        ;     Child Loop BB26_27 Depth 2
	v_cmp_lt_i32_e32 vcc, v24, v46
	v_mov_b32_e32 v67, s18
	ds_write_b8 v65, v29
	ds_write_b128 v49, v[0:3]
	ds_write_b128 v49, v[0:3] offset:16
	ds_write_b128 v49, v[0:3] offset:32
	;; [unrolled: 1-line block ×8, first 2 shown]
	s_waitcnt lgkmcnt(0)
	s_and_saveexec_b64 s[4:5], vcc
	s_cbranch_execz .LBB26_24
; %bb.12:                               ;   in Loop: Header=BB26_11 Depth=1
	v_mad_u64_u32 v[4:5], s[2:3], v24, 9, 8
	s_mov_b64 s[6:7], 0
	v_mov_b32_e32 v67, s18
	s_branch .LBB26_14
.LBB26_13:                              ;   in Loop: Header=BB26_14 Depth=2
	s_or_b64 exec, exec, s[28:29]
	s_and_b64 s[2:3], exec, s[16:17]
	s_or_b64 s[6:7], s[2:3], s[6:7]
	s_andn2_b64 exec, exec, s[6:7]
	s_cbranch_execz .LBB26_23
.LBB26_14:                              ;   Parent Loop BB26_11 Depth=1
                                        ; =>  This Inner Loop Header: Depth=2
	v_ashrrev_i32_e32 v25, 31, v24
	v_lshlrev_b64 v[6:7], 2, v[24:25]
	v_mov_b32_e32 v5, s11
	v_add_co_u32_e32 v6, vcc, s10, v6
	v_addc_co_u32_e32 v7, vcc, v5, v7, vcc
	global_load_dword v5, v[6:7], off
	s_waitcnt vmcnt(0)
	v_subrev_u32_e32 v6, s12, v5
	v_sub_u32_e32 v5, v6, v68
	v_cmp_gt_u32_e64 s[2:3], 32, v5
	v_cmp_lt_u32_e32 vcc, 31, v5
	s_and_saveexec_b64 s[16:17], vcc
	s_xor_b64 s[16:17], exec, s[16:17]
; %bb.15:                               ;   in Loop: Header=BB26_14 Depth=2
	v_min_i32_e32 v67, v6, v67
                                        ; implicit-def: $vgpr5
; %bb.16:                               ;   in Loop: Header=BB26_14 Depth=2
	s_andn2_saveexec_b64 s[16:17], s[16:17]
	s_cbranch_execz .LBB26_21
; %bb.17:                               ;   in Loop: Header=BB26_14 Depth=2
	v_add_u32_e32 v28, -8, v4
	v_lshlrev_b64 v[6:7], 4, v[28:29]
	v_mov_b32_e32 v8, s21
	v_add_co_u32_e32 v6, vcc, s20, v6
	v_addc_co_u32_e32 v7, vcc, v8, v7, vcc
	global_load_dwordx4 v[32:35], v[6:7], off
	v_add_u32_e32 v7, v44, v5
	v_mul_lo_u32 v5, v5, s19
	s_and_b64 vcc, exec, s[0:1]
	v_add_u32_e32 v8, -2, v4
	v_add_u32_e32 v30, -7, v4
	;; [unrolled: 1-line block ×5, first 2 shown]
	v_add_u32_e32 v25, v45, v5
	v_add_u32_e32 v28, -5, v4
	v_add_u32_e32 v10, -3, v4
	ds_write_b8 v7, v66
	s_waitcnt vmcnt(0)
	v_mul_f64 v[36:37], v[34:35], -v[18:19]
	v_mul_f64 v[38:39], v[16:17], v[34:35]
	v_fmac_f64_e32 v[36:37], v[16:17], v[32:33]
	v_fmac_f64_e32 v[38:39], v[18:19], v[32:33]
	ds_write_b128 v25, v[36:39]
	s_cbranch_vccnz .LBB26_19
; %bb.18:                               ;   in Loop: Header=BB26_14 Depth=2
	v_lshlrev_b64 v[32:33], 4, v[28:29]
	v_mov_b32_e32 v27, s21
	v_add_co_u32_e32 v40, vcc, s20, v32
	v_mov_b32_e32 v9, v29
	v_addc_co_u32_e32 v41, vcc, v27, v33, vcc
	v_lshlrev_b64 v[32:33], 4, v[8:9]
	v_add_co_u32_e32 v42, vcc, s20, v32
	v_mov_b32_e32 v31, v29
	v_addc_co_u32_e32 v43, vcc, v27, v33, vcc
	global_load_dwordx4 v[32:35], v[40:41], off
	global_load_dwordx4 v[36:39], v[42:43], off
	v_lshlrev_b64 v[40:41], 4, v[30:31]
	v_add_co_u32_e32 v74, vcc, s20, v40
	v_mov_b32_e32 v13, v29
	v_addc_co_u32_e32 v75, vcc, v27, v41, vcc
	v_lshlrev_b64 v[40:41], 4, v[12:13]
	v_add_co_u32_e32 v76, vcc, s20, v40
	v_mov_b32_e32 v7, v29
	v_addc_co_u32_e32 v77, vcc, v27, v41, vcc
	global_load_dwordx4 v[40:43], v[74:75], off
	global_load_dwordx4 v[70:73], v[76:77], off
	v_lshlrev_b64 v[74:75], 4, v[6:7]
	v_add_co_u32_e32 v74, vcc, s20, v74
	v_mov_b32_e32 v15, v29
	v_addc_co_u32_e32 v75, vcc, v27, v75, vcc
	v_lshlrev_b64 v[78:79], 4, v[14:15]
	v_add_co_u32_e32 v78, vcc, s20, v78
	v_mov_b32_e32 v11, v29
	v_addc_co_u32_e32 v79, vcc, v27, v79, vcc
	v_lshlrev_b64 v[82:83], 4, v[10:11]
	v_add_co_u32_e32 v82, vcc, s20, v82
	v_mov_b32_e32 v5, v29
	global_load_dwordx4 v[74:77], v[74:75], off
	v_addc_co_u32_e32 v83, vcc, v27, v83, vcc
	global_load_dwordx4 v[78:81], v[78:79], off
	v_lshlrev_b64 v[86:87], 4, v[4:5]
	global_load_dwordx4 v[82:85], v[82:83], off
	v_add_co_u32_e32 v86, vcc, s20, v86
	v_addc_co_u32_e32 v87, vcc, v27, v87, vcc
	global_load_dwordx4 v[86:89], v[86:87], off
	s_waitcnt vmcnt(7)
	v_mul_f64 v[90:91], v[34:35], -v[18:19]
	v_mul_f64 v[92:93], v[16:17], v[34:35]
	v_fmac_f64_e32 v[90:91], v[16:17], v[32:33]
	v_fmac_f64_e32 v[92:93], v[18:19], v[32:33]
	s_waitcnt vmcnt(6)
	v_mul_f64 v[32:33], v[38:39], -v[18:19]
	v_mul_f64 v[34:35], v[16:17], v[38:39]
	v_fmac_f64_e32 v[32:33], v[16:17], v[36:37]
	v_fmac_f64_e32 v[34:35], v[18:19], v[36:37]
	ds_write_b128 v25, v[90:93] offset:16
	s_waitcnt vmcnt(5)
	v_mul_f64 v[94:95], v[42:43], -v[18:19]
	v_mul_f64 v[96:97], v[16:17], v[42:43]
	s_waitcnt vmcnt(4)
	v_mul_f64 v[98:99], v[72:73], -v[18:19]
	v_mul_f64 v[100:101], v[16:17], v[72:73]
	v_fmac_f64_e32 v[94:95], v[16:17], v[40:41]
	v_fmac_f64_e32 v[96:97], v[18:19], v[40:41]
	;; [unrolled: 1-line block ×4, first 2 shown]
	s_waitcnt vmcnt(3)
	v_mul_f64 v[102:103], v[76:77], -v[18:19]
	v_mul_f64 v[104:105], v[16:17], v[76:77]
	v_fmac_f64_e32 v[102:103], v[16:17], v[74:75]
	s_waitcnt vmcnt(2)
	v_mul_f64 v[106:107], v[80:81], -v[18:19]
	v_mul_f64 v[108:109], v[16:17], v[80:81]
	v_fmac_f64_e32 v[104:105], v[18:19], v[74:75]
	v_fmac_f64_e32 v[106:107], v[16:17], v[78:79]
	;; [unrolled: 1-line block ×3, first 2 shown]
	ds_write_b128 v25, v[32:35] offset:32
	ds_write_b128 v25, v[94:97] offset:48
	;; [unrolled: 1-line block ×5, first 2 shown]
	s_waitcnt vmcnt(1)
	v_mul_f64 v[32:33], v[84:85], -v[18:19]
	v_mul_f64 v[34:35], v[16:17], v[84:85]
	v_fmac_f64_e32 v[32:33], v[16:17], v[82:83]
	v_fmac_f64_e32 v[34:35], v[18:19], v[82:83]
	ds_write_b128 v25, v[32:35] offset:112
	s_waitcnt vmcnt(0)
	v_mul_f64 v[32:33], v[88:89], -v[18:19]
	v_mul_f64 v[34:35], v[16:17], v[88:89]
	v_fmac_f64_e32 v[32:33], v[16:17], v[86:87]
	v_fmac_f64_e32 v[34:35], v[18:19], v[86:87]
	ds_write_b128 v25, v[32:35] offset:128
	s_cbranch_execz .LBB26_20
	s_branch .LBB26_21
.LBB26_19:                              ;   in Loop: Header=BB26_14 Depth=2
.LBB26_20:                              ;   in Loop: Header=BB26_14 Depth=2
	v_mov_b32_e32 v31, v29
	v_lshlrev_b64 v[30:31], 4, v[30:31]
	v_mov_b32_e32 v27, s21
	v_add_co_u32_e32 v38, vcc, s20, v30
	v_mov_b32_e32 v15, v29
	v_addc_co_u32_e32 v39, vcc, v27, v31, vcc
	v_lshlrev_b64 v[14:15], 4, v[14:15]
	v_add_co_u32_e32 v14, vcc, s20, v14
	v_addc_co_u32_e32 v15, vcc, v27, v15, vcc
	global_load_dwordx4 v[30:33], v[38:39], off
	global_load_dwordx4 v[34:37], v[14:15], off
	v_lshlrev_b64 v[14:15], 4, v[28:29]
	v_add_co_u32_e32 v42, vcc, s20, v14
	v_mov_b32_e32 v13, v29
	v_addc_co_u32_e32 v43, vcc, v27, v15, vcc
	v_lshlrev_b64 v[12:13], 4, v[12:13]
	v_add_co_u32_e32 v70, vcc, s20, v12
	v_mov_b32_e32 v11, v29
	v_addc_co_u32_e32 v71, vcc, v27, v13, vcc
	v_lshlrev_b64 v[10:11], 4, v[10:11]
	v_add_co_u32_e32 v10, vcc, s20, v10
	v_mov_b32_e32 v9, v29
	v_addc_co_u32_e32 v11, vcc, v27, v11, vcc
	v_lshlrev_b64 v[8:9], 4, v[8:9]
	v_add_co_u32_e32 v8, vcc, s20, v8
	v_mov_b32_e32 v7, v29
	v_addc_co_u32_e32 v9, vcc, v27, v9, vcc
	v_lshlrev_b64 v[6:7], 4, v[6:7]
	v_add_co_u32_e32 v6, vcc, s20, v6
	v_addc_co_u32_e32 v7, vcc, v27, v7, vcc
	v_mov_b32_e32 v5, v29
	global_load_dwordx4 v[12:15], v[42:43], off
	global_load_dwordx4 v[38:41], v[70:71], off
	global_load_dwordx4 v[74:77], v[6:7], off
	v_lshlrev_b64 v[6:7], 4, v[4:5]
	global_load_dwordx4 v[70:73], v[10:11], off
	v_add_co_u32_e32 v6, vcc, s20, v6
	global_load_dwordx4 v[8:11], v[8:9], off
	v_addc_co_u32_e32 v7, vcc, v27, v7, vcc
	global_load_dwordx4 v[78:81], v[6:7], off
	s_waitcnt vmcnt(7)
	v_mul_f64 v[86:87], v[32:33], -v[18:19]
	v_mul_f64 v[88:89], v[16:17], v[32:33]
	s_waitcnt vmcnt(6)
	v_mul_f64 v[90:91], v[36:37], -v[18:19]
	v_mul_f64 v[92:93], v[16:17], v[36:37]
	v_fmac_f64_e32 v[86:87], v[16:17], v[30:31]
	v_fmac_f64_e32 v[88:89], v[18:19], v[30:31]
	;; [unrolled: 1-line block ×4, first 2 shown]
	s_waitcnt vmcnt(5)
	v_mul_f64 v[82:83], v[14:15], -v[18:19]
	v_mul_f64 v[84:85], v[16:17], v[14:15]
	s_waitcnt vmcnt(3)
	v_mul_f64 v[6:7], v[76:77], -v[18:19]
	v_fmac_f64_e32 v[82:83], v[16:17], v[12:13]
	v_fmac_f64_e32 v[84:85], v[18:19], v[12:13]
	v_mul_f64 v[12:13], v[40:41], -v[18:19]
	v_mul_f64 v[14:15], v[16:17], v[40:41]
	s_waitcnt vmcnt(1)
	v_mul_f64 v[94:95], v[10:11], -v[18:19]
	v_mul_f64 v[96:97], v[16:17], v[10:11]
	v_fmac_f64_e32 v[94:95], v[16:17], v[8:9]
	v_fmac_f64_e32 v[96:97], v[18:19], v[8:9]
	v_mul_f64 v[8:9], v[16:17], v[76:77]
	v_mul_f64 v[40:41], v[72:73], -v[18:19]
	v_mul_f64 v[42:43], v[16:17], v[72:73]
	v_fmac_f64_e32 v[6:7], v[16:17], v[74:75]
	v_fmac_f64_e32 v[8:9], v[18:19], v[74:75]
	ds_write_b128 v25, v[82:85] offset:48
	v_fmac_f64_e32 v[12:13], v[16:17], v[38:39]
	v_fmac_f64_e32 v[14:15], v[18:19], v[38:39]
	;; [unrolled: 1-line block ×4, first 2 shown]
	ds_write_b128 v25, v[86:89] offset:16
	ds_write_b128 v25, v[90:93] offset:32
	;; [unrolled: 1-line block ×6, first 2 shown]
	s_waitcnt vmcnt(0)
	v_mul_f64 v[6:7], v[80:81], -v[18:19]
	v_mul_f64 v[8:9], v[16:17], v[80:81]
	v_fmac_f64_e32 v[6:7], v[16:17], v[78:79]
	v_fmac_f64_e32 v[8:9], v[18:19], v[78:79]
	ds_write_b128 v25, v[6:9] offset:128
.LBB26_21:                              ;   in Loop: Header=BB26_14 Depth=2
	s_or_b64 exec, exec, s[16:17]
	s_mov_b64 s[16:17], -1
	s_and_saveexec_b64 s[28:29], s[2:3]
	s_cbranch_execz .LBB26_13
; %bb.22:                               ;   in Loop: Header=BB26_14 Depth=2
	v_add_u32_e32 v24, 32, v24
	v_cmp_ge_i32_e32 vcc, v24, v46
	v_add_u32_e32 v4, 0x120, v4
	s_orn2_b64 s[16:17], vcc, exec
	s_branch .LBB26_13
.LBB26_23:                              ;   in Loop: Header=BB26_11 Depth=1
	s_or_b64 exec, exec, s[6:7]
.LBB26_24:                              ;   in Loop: Header=BB26_11 Depth=1
	s_or_b64 exec, exec, s[4:5]
	v_cmp_lt_i32_e32 vcc, v26, v47
	s_waitcnt lgkmcnt(0)
	s_and_saveexec_b64 s[4:5], vcc
	s_cbranch_execz .LBB26_37
; %bb.25:                               ;   in Loop: Header=BB26_11 Depth=1
	v_mad_u64_u32 v[30:31], s[2:3], v26, 9, 8
	s_mov_b64 s[6:7], 0
	s_branch .LBB26_27
.LBB26_26:                              ;   in Loop: Header=BB26_27 Depth=2
	s_or_b64 exec, exec, s[28:29]
	s_and_b64 s[2:3], exec, s[16:17]
	s_or_b64 s[6:7], s[2:3], s[6:7]
	s_andn2_b64 exec, exec, s[6:7]
	s_cbranch_execz .LBB26_36
.LBB26_27:                              ;   Parent Loop BB26_11 Depth=1
                                        ; =>  This Inner Loop Header: Depth=2
	v_ashrrev_i32_e32 v27, 31, v26
	s_waitcnt lgkmcnt(1)
	v_lshlrev_b64 v[4:5], 2, v[26:27]
	v_mov_b32_e32 v6, s23
	v_add_co_u32_e32 v4, vcc, s22, v4
	v_addc_co_u32_e32 v5, vcc, v6, v5, vcc
	global_load_dword v4, v[4:5], off
	s_waitcnt vmcnt(0)
	v_subrev_u32_e32 v5, s13, v4
	v_sub_u32_e32 v4, v5, v68
	v_cmp_gt_u32_e64 s[2:3], 32, v4
	v_cmp_lt_u32_e32 vcc, 31, v4
	s_and_saveexec_b64 s[16:17], vcc
	s_xor_b64 s[16:17], exec, s[16:17]
; %bb.28:                               ;   in Loop: Header=BB26_27 Depth=2
	v_min_i32_e32 v67, v5, v67
                                        ; implicit-def: $vgpr4
; %bb.29:                               ;   in Loop: Header=BB26_27 Depth=2
	s_andn2_saveexec_b64 s[16:17], s[16:17]
	s_cbranch_execz .LBB26_34
; %bb.30:                               ;   in Loop: Header=BB26_27 Depth=2
	v_add_u32_e32 v28, -8, v30
	v_lshlrev_b64 v[6:7], 4, v[28:29]
	v_mov_b32_e32 v5, s9
	v_add_co_u32_e32 v6, vcc, s8, v6
	v_addc_co_u32_e32 v7, vcc, v5, v7, vcc
	global_load_dwordx4 v[8:11], v[6:7], off
	v_add_u32_e32 v5, v44, v4
	v_mul_lo_u32 v4, v4, s19
	v_add_u32_e32 v25, v45, v4
	ds_read_b128 v[12:15], v25
	ds_write_b8 v5, v66
	ds_read_b128 v[4:7], v25 offset:16
	s_and_b64 vcc, exec, s[0:1]
	v_add_u32_e32 v34, -2, v30
	v_add_u32_e32 v42, -7, v30
	;; [unrolled: 1-line block ×7, first 2 shown]
	s_waitcnt vmcnt(0) lgkmcnt(2)
	v_fmac_f64_e32 v[12:13], v[20:21], v[8:9]
	v_fmac_f64_e32 v[14:15], v[22:23], v[8:9]
	v_fma_f64 v[12:13], -v[22:23], v[10:11], v[12:13]
	v_fmac_f64_e32 v[14:15], v[20:21], v[10:11]
	ds_write_b128 v25, v[12:15]
	s_cbranch_vccnz .LBB26_32
; %bb.31:                               ;   in Loop: Header=BB26_27 Depth=2
	v_lshlrev_b64 v[8:9], 4, v[28:29]
	v_mov_b32_e32 v27, s9
	v_add_co_u32_e32 v70, vcc, s8, v8
	v_mov_b32_e32 v35, v29
	v_addc_co_u32_e32 v71, vcc, v27, v9, vcc
	v_lshlrev_b64 v[8:9], 4, v[34:35]
	v_add_co_u32_e32 v72, vcc, s8, v8
	v_mov_b32_e32 v43, v29
	v_addc_co_u32_e32 v73, vcc, v27, v9, vcc
	global_load_dwordx4 v[12:15], v[70:71], off
	global_load_dwordx4 v[8:11], v[72:73], off
	v_lshlrev_b64 v[70:71], 4, v[42:43]
	v_add_co_u32_e32 v78, vcc, s8, v70
	v_mov_b32_e32 v39, v29
	v_addc_co_u32_e32 v79, vcc, v27, v71, vcc
	v_lshlrev_b64 v[70:71], 4, v[38:39]
	v_add_co_u32_e32 v80, vcc, s8, v70
	v_mov_b32_e32 v33, v29
	v_addc_co_u32_e32 v81, vcc, v27, v71, vcc
	global_load_dwordx4 v[70:73], v[78:79], off
	global_load_dwordx4 v[74:77], v[80:81], off
	v_lshlrev_b64 v[78:79], 4, v[32:33]
	v_add_co_u32_e32 v78, vcc, s8, v78
	v_mov_b32_e32 v41, v29
	v_addc_co_u32_e32 v79, vcc, v27, v79, vcc
	v_lshlrev_b64 v[82:83], 4, v[40:41]
	v_add_co_u32_e32 v82, vcc, s8, v82
	v_addc_co_u32_e32 v83, vcc, v27, v83, vcc
	global_load_dwordx4 v[78:81], v[78:79], off
	v_mov_b32_e32 v37, v29
	global_load_dwordx4 v[82:85], v[82:83], off
	v_lshlrev_b64 v[86:87], 4, v[36:37]
	v_add_co_u32_e32 v86, vcc, s8, v86
	v_mov_b32_e32 v31, v29
	v_addc_co_u32_e32 v87, vcc, v27, v87, vcc
	v_lshlrev_b64 v[90:91], 4, v[30:31]
	v_add_co_u32_e32 v90, vcc, s8, v90
	v_addc_co_u32_e32 v91, vcc, v27, v91, vcc
	global_load_dwordx4 v[86:89], v[86:87], off
	s_nop 0
	global_load_dwordx4 v[90:93], v[90:91], off
	ds_read_b128 v[94:97], v25 offset:32
	ds_read_b128 v[98:101], v25 offset:48
	;; [unrolled: 1-line block ×4, first 2 shown]
	s_waitcnt vmcnt(7) lgkmcnt(5)
	v_fma_f64 v[110:111], v[20:21], v[12:13], v[4:5]
	s_waitcnt vmcnt(6) lgkmcnt(3)
	v_fmac_f64_e32 v[94:95], v[20:21], v[8:9]
	v_fmac_f64_e32 v[96:97], v[22:23], v[8:9]
	v_fma_f64 v[94:95], -v[22:23], v[10:11], v[94:95]
	v_fmac_f64_e32 v[96:97], v[20:21], v[10:11]
	ds_read_b128 v[8:11], v25 offset:96
	v_fma_f64 v[112:113], v[22:23], v[12:13], v[6:7]
	v_fma_f64 v[110:111], -v[22:23], v[14:15], v[110:111]
	v_fmac_f64_e32 v[112:113], v[20:21], v[14:15]
	ds_write_b128 v25, v[110:113] offset:16
	ds_write_b128 v25, v[94:97] offset:32
	s_waitcnt vmcnt(5) lgkmcnt(5)
	v_fmac_f64_e32 v[98:99], v[20:21], v[70:71]
	v_fmac_f64_e32 v[100:101], v[22:23], v[70:71]
	s_waitcnt vmcnt(4) lgkmcnt(4)
	v_fmac_f64_e32 v[102:103], v[20:21], v[74:75]
	v_fmac_f64_e32 v[104:105], v[22:23], v[74:75]
	v_fma_f64 v[98:99], -v[22:23], v[72:73], v[98:99]
	v_fmac_f64_e32 v[100:101], v[20:21], v[72:73]
	v_fma_f64 v[102:103], -v[22:23], v[76:77], v[102:103]
	v_fmac_f64_e32 v[104:105], v[20:21], v[76:77]
	s_waitcnt vmcnt(3) lgkmcnt(3)
	v_fmac_f64_e32 v[106:107], v[20:21], v[78:79]
	v_fmac_f64_e32 v[108:109], v[22:23], v[78:79]
	s_waitcnt vmcnt(2) lgkmcnt(2)
	v_fmac_f64_e32 v[8:9], v[20:21], v[82:83]
	v_fmac_f64_e32 v[10:11], v[22:23], v[82:83]
	v_fma_f64 v[106:107], -v[22:23], v[80:81], v[106:107]
	v_fmac_f64_e32 v[108:109], v[20:21], v[80:81]
	ds_write_b128 v25, v[98:101] offset:48
	ds_write_b128 v25, v[102:105] offset:64
	;; [unrolled: 1-line block ×3, first 2 shown]
	v_fma_f64 v[8:9], -v[22:23], v[84:85], v[8:9]
	v_fmac_f64_e32 v[10:11], v[20:21], v[84:85]
	ds_read_b128 v[12:15], v25 offset:112
	ds_write_b128 v25, v[8:11] offset:96
	ds_read_b128 v[8:11], v25 offset:128
	s_waitcnt vmcnt(1) lgkmcnt(2)
	v_fmac_f64_e32 v[12:13], v[20:21], v[86:87]
	v_fmac_f64_e32 v[14:15], v[22:23], v[86:87]
	s_waitcnt vmcnt(0) lgkmcnt(0)
	v_fmac_f64_e32 v[8:9], v[20:21], v[90:91]
	v_fmac_f64_e32 v[10:11], v[22:23], v[90:91]
	v_fma_f64 v[12:13], -v[22:23], v[88:89], v[12:13]
	v_fmac_f64_e32 v[14:15], v[20:21], v[88:89]
	v_fma_f64 v[8:9], -v[22:23], v[92:93], v[8:9]
	v_fmac_f64_e32 v[10:11], v[20:21], v[92:93]
	ds_write_b128 v25, v[12:15] offset:112
	ds_write_b128 v25, v[8:11] offset:128
	s_cbranch_execz .LBB26_33
	s_branch .LBB26_34
.LBB26_32:                              ;   in Loop: Header=BB26_27 Depth=2
.LBB26_33:                              ;   in Loop: Header=BB26_27 Depth=2
	v_mov_b32_e32 v43, v29
	v_lshlrev_b64 v[8:9], 4, v[42:43]
	v_mov_b32_e32 v27, s9
	v_add_co_u32_e32 v42, vcc, s8, v8
	v_mov_b32_e32 v41, v29
	v_addc_co_u32_e32 v43, vcc, v27, v9, vcc
	v_lshlrev_b64 v[8:9], 4, v[40:41]
	v_add_co_u32_e32 v40, vcc, s8, v8
	v_addc_co_u32_e32 v41, vcc, v27, v9, vcc
	global_load_dwordx4 v[8:11], v[42:43], off
	global_load_dwordx4 v[12:15], v[40:41], off
	v_lshlrev_b64 v[40:41], 4, v[28:29]
	v_add_co_u32_e32 v40, vcc, s8, v40
	v_mov_b32_e32 v39, v29
	v_addc_co_u32_e32 v41, vcc, v27, v41, vcc
	v_lshlrev_b64 v[38:39], 4, v[38:39]
	v_add_co_u32_e32 v38, vcc, s8, v38
	v_mov_b32_e32 v37, v29
	v_addc_co_u32_e32 v39, vcc, v27, v39, vcc
	;; [unrolled: 4-line block ×3, first 2 shown]
	v_lshlrev_b64 v[34:35], 4, v[34:35]
	v_add_co_u32_e32 v34, vcc, s8, v34
	global_load_dwordx4 v[40:43], v[40:41], off
	v_addc_co_u32_e32 v35, vcc, v27, v35, vcc
	global_load_dwordx4 v[70:73], v[38:39], off
	global_load_dwordx4 v[74:77], v[34:35], off
	v_mov_b32_e32 v33, v29
	global_load_dwordx4 v[36:39], v[36:37], off
	v_lshlrev_b64 v[32:33], 4, v[32:33]
	v_add_co_u32_e32 v32, vcc, s8, v32
	v_mov_b32_e32 v31, v29
	v_addc_co_u32_e32 v33, vcc, v27, v33, vcc
	global_load_dwordx4 v[32:35], v[32:33], off
	v_lshlrev_b64 v[78:79], 4, v[30:31]
	v_add_co_u32_e32 v78, vcc, s8, v78
	v_addc_co_u32_e32 v79, vcc, v27, v79, vcc
	global_load_dwordx4 v[78:81], v[78:79], off
	ds_read_b128 v[82:85], v25 offset:48
	ds_read_b128 v[86:89], v25 offset:32
	;; [unrolled: 1-line block ×4, first 2 shown]
	s_waitcnt vmcnt(7) lgkmcnt(5)
	v_fmac_f64_e32 v[4:5], v[20:21], v[8:9]
	v_fmac_f64_e32 v[6:7], v[22:23], v[8:9]
	v_fma_f64 v[4:5], -v[22:23], v[10:11], v[4:5]
	v_fmac_f64_e32 v[6:7], v[20:21], v[10:11]
	ds_write_b128 v25, v[4:7] offset:16
	ds_read_b128 v[4:7], v25 offset:96
	s_waitcnt vmcnt(6) lgkmcnt(4)
	v_fmac_f64_e32 v[86:87], v[20:21], v[12:13]
	v_fmac_f64_e32 v[88:89], v[22:23], v[12:13]
	v_fma_f64 v[86:87], -v[22:23], v[14:15], v[86:87]
	v_fmac_f64_e32 v[88:89], v[20:21], v[14:15]
	s_waitcnt vmcnt(5)
	v_fmac_f64_e32 v[82:83], v[20:21], v[40:41]
	v_fmac_f64_e32 v[84:85], v[22:23], v[40:41]
	v_fma_f64 v[82:83], -v[22:23], v[42:43], v[82:83]
	v_fmac_f64_e32 v[84:85], v[20:21], v[42:43]
	s_waitcnt vmcnt(4) lgkmcnt(3)
	v_fmac_f64_e32 v[90:91], v[20:21], v[70:71]
	v_fmac_f64_e32 v[92:93], v[22:23], v[70:71]
	s_waitcnt vmcnt(2) lgkmcnt(2)
	v_fmac_f64_e32 v[94:95], v[20:21], v[36:37]
	v_fmac_f64_e32 v[96:97], v[22:23], v[36:37]
	s_waitcnt lgkmcnt(0)
	v_fmac_f64_e32 v[4:5], v[20:21], v[74:75]
	v_fmac_f64_e32 v[6:7], v[22:23], v[74:75]
	ds_write_b128 v25, v[82:85] offset:48
	v_fma_f64 v[90:91], -v[22:23], v[72:73], v[90:91]
	v_fmac_f64_e32 v[92:93], v[20:21], v[72:73]
	v_fma_f64 v[94:95], -v[22:23], v[38:39], v[94:95]
	v_fmac_f64_e32 v[96:97], v[20:21], v[38:39]
	ds_write_b128 v25, v[86:89] offset:32
	ds_write_b128 v25, v[90:93] offset:64
	;; [unrolled: 1-line block ×3, first 2 shown]
	v_fma_f64 v[4:5], -v[22:23], v[76:77], v[4:5]
	v_fmac_f64_e32 v[6:7], v[20:21], v[76:77]
	ds_read_b128 v[8:11], v25 offset:112
	ds_write_b128 v25, v[4:7] offset:96
	ds_read_b128 v[4:7], v25 offset:128
	s_waitcnt vmcnt(1) lgkmcnt(2)
	v_fmac_f64_e32 v[8:9], v[20:21], v[32:33]
	v_fmac_f64_e32 v[10:11], v[22:23], v[32:33]
	s_waitcnt vmcnt(0) lgkmcnt(0)
	v_fmac_f64_e32 v[4:5], v[20:21], v[78:79]
	v_fmac_f64_e32 v[6:7], v[22:23], v[78:79]
	v_fma_f64 v[8:9], -v[22:23], v[34:35], v[8:9]
	v_fmac_f64_e32 v[10:11], v[20:21], v[34:35]
	v_fma_f64 v[4:5], -v[22:23], v[80:81], v[4:5]
	v_fmac_f64_e32 v[6:7], v[20:21], v[80:81]
	ds_write_b128 v25, v[8:11] offset:112
	ds_write_b128 v25, v[4:7] offset:128
.LBB26_34:                              ;   in Loop: Header=BB26_27 Depth=2
	s_or_b64 exec, exec, s[16:17]
	s_mov_b64 s[16:17], -1
	s_and_saveexec_b64 s[28:29], s[2:3]
	s_cbranch_execz .LBB26_26
; %bb.35:                               ;   in Loop: Header=BB26_27 Depth=2
	v_add_u32_e32 v26, 32, v26
	v_cmp_ge_i32_e32 vcc, v26, v47
	v_add_u32_e32 v30, 0x120, v30
	s_orn2_b64 s[16:17], vcc, exec
	s_branch .LBB26_26
.LBB26_36:                              ;   in Loop: Header=BB26_11 Depth=1
	s_or_b64 exec, exec, s[6:7]
.LBB26_37:                              ;   in Loop: Header=BB26_11 Depth=1
	s_or_b64 exec, exec, s[4:5]
	s_waitcnt lgkmcnt(0)
	ds_read_u8 v4, v65
	s_waitcnt lgkmcnt(0)
	v_and_b32_e32 v5, 1, v4
	v_cmp_eq_u32_e64 s[2:3], 1, v5
	v_cmp_ne_u16_e32 vcc, 0, v4
	s_and_saveexec_b64 s[4:5], s[2:3]
	s_cbranch_execz .LBB26_10
; %bb.38:                               ;   in Loop: Header=BB26_11 Depth=1
	v_and_b32_e32 v4, vcc_lo, v50
	v_bcnt_u32_b32 v4, v4, 0
	v_add3_u32 v4, v48, v4, -1
	v_ashrrev_i32_e32 v5, 31, v4
	v_lshlrev_b64 v[6:7], 2, v[4:5]
	v_mov_b32_e32 v5, s25
	v_add_co_u32_e64 v6, s[2:3], s24, v6
	v_add_u32_e32 v8, v51, v68
	v_addc_co_u32_e64 v7, s[2:3], v5, v7, s[2:3]
	global_store_dword v[6:7], v8, off
	v_lshl_add_u32 v28, v4, 3, v4
	ds_read2_b64 v[4:7], v49 offset1:1
	v_lshlrev_b64 v[8:9], 4, v[28:29]
	v_mov_b32_e32 v25, s27
	v_add_co_u32_e64 v12, s[2:3], s26, v8
	v_addc_co_u32_e64 v13, s[2:3], v25, v9, s[2:3]
	ds_read2_b64 v[8:11], v53 offset1:1
	s_waitcnt lgkmcnt(1)
	global_store_dwordx4 v[12:13], v[4:7], off
	s_nop 0
	v_add_u32_e32 v4, 1, v28
	v_mov_b32_e32 v5, v29
	v_lshlrev_b64 v[4:5], 4, v[4:5]
	v_add_co_u32_e64 v34, s[2:3], s26, v4
	v_addc_co_u32_e64 v35, s[2:3], v25, v5, s[2:3]
	v_add_u32_e32 v4, 2, v28
	v_mov_b32_e32 v5, v29
	v_lshlrev_b64 v[4:5], 4, v[4:5]
	v_add_co_u32_e64 v36, s[2:3], s26, v4
	v_addc_co_u32_e64 v37, s[2:3], v25, v5, s[2:3]
	;; [unrolled: 5-line block ×7, first 2 shown]
	ds_read2_b64 v[4:7], v59 offset1:1
	ds_read2_b64 v[12:15], v60 offset1:1
	;; [unrolled: 1-line block ×3, first 2 shown]
	s_waitcnt lgkmcnt(2)
	global_store_dwordx4 v[34:35], v[4:7], off
	s_waitcnt lgkmcnt(1)
	global_store_dwordx4 v[36:37], v[12:15], off
	;; [unrolled: 2-line block ×3, first 2 shown]
	ds_read2_b64 v[4:7], v62 offset1:1
	ds_read2_b64 v[12:15], v63 offset1:1
	;; [unrolled: 1-line block ×4, first 2 shown]
	v_add_u32_e32 v28, 8, v28
	v_lshlrev_b64 v[72:73], 4, v[28:29]
	v_add_co_u32_e64 v72, s[2:3], s26, v72
	v_addc_co_u32_e64 v73, s[2:3], v25, v73, s[2:3]
	global_store_dwordx4 v[40:41], v[8:11], off
	s_waitcnt lgkmcnt(3)
	global_store_dwordx4 v[42:43], v[4:7], off
	s_waitcnt lgkmcnt(2)
	;; [unrolled: 2-line block ×4, first 2 shown]
	global_store_dwordx4 v[72:73], v[34:37], off
	s_branch .LBB26_10
.LBB26_39:
	s_endpgm
	.section	.rodata,"a",@progbits
	.p2align	6, 0x0
	.amdhsa_kernel _ZN9rocsparseL39bsrgeam_wf_per_row_multipass_2_3_kernelILj256ELj3ELj32E21rocsparse_complex_numIdEEEv20rocsparse_direction_iiiNS_24const_host_device_scalarIT2_EEPKiS8_PKS5_S6_S8_S8_SA_S8_PiPS5_21rocsparse_index_base_SD_SD_b
		.amdhsa_group_segment_fixed_size 41216
		.amdhsa_private_segment_fixed_size 0
		.amdhsa_kernarg_size 136
		.amdhsa_user_sgpr_count 8
		.amdhsa_user_sgpr_private_segment_buffer 1
		.amdhsa_user_sgpr_dispatch_ptr 1
		.amdhsa_user_sgpr_queue_ptr 0
		.amdhsa_user_sgpr_kernarg_segment_ptr 1
		.amdhsa_user_sgpr_dispatch_id 0
		.amdhsa_user_sgpr_flat_scratch_init 0
		.amdhsa_user_sgpr_kernarg_preload_length 0
		.amdhsa_user_sgpr_kernarg_preload_offset 0
		.amdhsa_user_sgpr_private_segment_size 0
		.amdhsa_uses_dynamic_stack 0
		.amdhsa_system_sgpr_private_segment_wavefront_offset 0
		.amdhsa_system_sgpr_workgroup_id_x 1
		.amdhsa_system_sgpr_workgroup_id_y 0
		.amdhsa_system_sgpr_workgroup_id_z 0
		.amdhsa_system_sgpr_workgroup_info 0
		.amdhsa_system_vgpr_workitem_id 2
		.amdhsa_next_free_vgpr 114
		.amdhsa_next_free_sgpr 30
		.amdhsa_accum_offset 116
		.amdhsa_reserve_vcc 1
		.amdhsa_reserve_flat_scratch 0
		.amdhsa_float_round_mode_32 0
		.amdhsa_float_round_mode_16_64 0
		.amdhsa_float_denorm_mode_32 3
		.amdhsa_float_denorm_mode_16_64 3
		.amdhsa_dx10_clamp 1
		.amdhsa_ieee_mode 1
		.amdhsa_fp16_overflow 0
		.amdhsa_tg_split 0
		.amdhsa_exception_fp_ieee_invalid_op 0
		.amdhsa_exception_fp_denorm_src 0
		.amdhsa_exception_fp_ieee_div_zero 0
		.amdhsa_exception_fp_ieee_overflow 0
		.amdhsa_exception_fp_ieee_underflow 0
		.amdhsa_exception_fp_ieee_inexact 0
		.amdhsa_exception_int_div_zero 0
	.end_amdhsa_kernel
	.section	.text._ZN9rocsparseL39bsrgeam_wf_per_row_multipass_2_3_kernelILj256ELj3ELj32E21rocsparse_complex_numIdEEEv20rocsparse_direction_iiiNS_24const_host_device_scalarIT2_EEPKiS8_PKS5_S6_S8_S8_SA_S8_PiPS5_21rocsparse_index_base_SD_SD_b,"axG",@progbits,_ZN9rocsparseL39bsrgeam_wf_per_row_multipass_2_3_kernelILj256ELj3ELj32E21rocsparse_complex_numIdEEEv20rocsparse_direction_iiiNS_24const_host_device_scalarIT2_EEPKiS8_PKS5_S6_S8_S8_SA_S8_PiPS5_21rocsparse_index_base_SD_SD_b,comdat
.Lfunc_end26:
	.size	_ZN9rocsparseL39bsrgeam_wf_per_row_multipass_2_3_kernelILj256ELj3ELj32E21rocsparse_complex_numIdEEEv20rocsparse_direction_iiiNS_24const_host_device_scalarIT2_EEPKiS8_PKS5_S6_S8_S8_SA_S8_PiPS5_21rocsparse_index_base_SD_SD_b, .Lfunc_end26-_ZN9rocsparseL39bsrgeam_wf_per_row_multipass_2_3_kernelILj256ELj3ELj32E21rocsparse_complex_numIdEEEv20rocsparse_direction_iiiNS_24const_host_device_scalarIT2_EEPKiS8_PKS5_S6_S8_S8_SA_S8_PiPS5_21rocsparse_index_base_SD_SD_b
                                        ; -- End function
	.section	.AMDGPU.csdata,"",@progbits
; Kernel info:
; codeLenInByte = 4436
; NumSgprs: 34
; NumVgprs: 114
; NumAgprs: 0
; TotalNumVgprs: 114
; ScratchSize: 0
; MemoryBound: 0
; FloatMode: 240
; IeeeMode: 1
; LDSByteSize: 41216 bytes/workgroup (compile time only)
; SGPRBlocks: 4
; VGPRBlocks: 14
; NumSGPRsForWavesPerEU: 34
; NumVGPRsForWavesPerEU: 114
; AccumOffset: 116
; Occupancy: 1
; WaveLimiterHint : 1
; COMPUTE_PGM_RSRC2:SCRATCH_EN: 0
; COMPUTE_PGM_RSRC2:USER_SGPR: 8
; COMPUTE_PGM_RSRC2:TRAP_HANDLER: 0
; COMPUTE_PGM_RSRC2:TGID_X_EN: 1
; COMPUTE_PGM_RSRC2:TGID_Y_EN: 0
; COMPUTE_PGM_RSRC2:TGID_Z_EN: 0
; COMPUTE_PGM_RSRC2:TIDIG_COMP_CNT: 2
; COMPUTE_PGM_RSRC3_GFX90A:ACCUM_OFFSET: 28
; COMPUTE_PGM_RSRC3_GFX90A:TG_SPLIT: 0
	.section	.text._ZN9rocsparseL39bsrgeam_wf_per_row_multipass_2_3_kernelILj256ELj3ELj64E21rocsparse_complex_numIdEEEv20rocsparse_direction_iiiNS_24const_host_device_scalarIT2_EEPKiS8_PKS5_S6_S8_S8_SA_S8_PiPS5_21rocsparse_index_base_SD_SD_b,"axG",@progbits,_ZN9rocsparseL39bsrgeam_wf_per_row_multipass_2_3_kernelILj256ELj3ELj64E21rocsparse_complex_numIdEEEv20rocsparse_direction_iiiNS_24const_host_device_scalarIT2_EEPKiS8_PKS5_S6_S8_S8_SA_S8_PiPS5_21rocsparse_index_base_SD_SD_b,comdat
	.globl	_ZN9rocsparseL39bsrgeam_wf_per_row_multipass_2_3_kernelILj256ELj3ELj64E21rocsparse_complex_numIdEEEv20rocsparse_direction_iiiNS_24const_host_device_scalarIT2_EEPKiS8_PKS5_S6_S8_S8_SA_S8_PiPS5_21rocsparse_index_base_SD_SD_b ; -- Begin function _ZN9rocsparseL39bsrgeam_wf_per_row_multipass_2_3_kernelILj256ELj3ELj64E21rocsparse_complex_numIdEEEv20rocsparse_direction_iiiNS_24const_host_device_scalarIT2_EEPKiS8_PKS5_S6_S8_S8_SA_S8_PiPS5_21rocsparse_index_base_SD_SD_b
	.p2align	8
	.type	_ZN9rocsparseL39bsrgeam_wf_per_row_multipass_2_3_kernelILj256ELj3ELj64E21rocsparse_complex_numIdEEEv20rocsparse_direction_iiiNS_24const_host_device_scalarIT2_EEPKiS8_PKS5_S6_S8_S8_SA_S8_PiPS5_21rocsparse_index_base_SD_SD_b,@function
_ZN9rocsparseL39bsrgeam_wf_per_row_multipass_2_3_kernelILj256ELj3ELj64E21rocsparse_complex_numIdEEEv20rocsparse_direction_iiiNS_24const_host_device_scalarIT2_EEPKiS8_PKS5_S6_S8_S8_SA_S8_PiPS5_21rocsparse_index_base_SD_SD_b: ; @_ZN9rocsparseL39bsrgeam_wf_per_row_multipass_2_3_kernelILj256ELj3ELj64E21rocsparse_complex_numIdEEEv20rocsparse_direction_iiiNS_24const_host_device_scalarIT2_EEPKiS8_PKS5_S6_S8_S8_SA_S8_PiPS5_21rocsparse_index_base_SD_SD_b
; %bb.0:
	s_load_dwordx4 s[12:15], s[6:7], 0x78
	s_load_dwordx4 s[20:23], s[6:7], 0x10
	;; [unrolled: 1-line block ×3, first 2 shown]
	s_mov_b64 s[2:3], src_shared_base
	s_load_dwordx2 s[4:5], s[4:5], 0x4
	s_waitcnt lgkmcnt(0)
	s_bitcmp1_b32 s15, 0
	s_cselect_b64 s[0:1], -1, 0
	s_and_b64 vcc, s[0:1], exec
	s_cselect_b32 s2, s3, s21
	s_lshr_b32 s4, s4, 16
	v_and_b32_e32 v8, 0x3ff, v0
	s_mul_i32 s4, s4, s5
	v_mul_lo_u32 v1, s4, v8
	v_bfe_u32 v2, v0, 10, 10
	v_mad_u32_u24 v1, v2, s5, v1
	v_bfe_u32 v0, v0, 20, 10
	v_add_lshl_u32 v5, v1, v0, 3
	v_mov_b32_e32 v4, s20
	v_add_u32_e32 v6, 0x9900, v5
	v_pk_mov_b32 v[0:1], s[20:21], s[20:21] op_sel:[0,1]
	v_pk_mov_b32 v[2:3], s[16:17], s[16:17] op_sel:[0,1]
	v_add_u32_e32 v7, 0x100, v5
	ds_write2st64_b64 v7, v[2:3], v[0:1] offset0:72 offset1:76
	v_cndmask_b32_e64 v0, v4, v6, s[0:1]
	v_mov_b32_e32 v1, s2
	flat_load_dwordx2 v[16:17], v[0:1]
	s_xor_b64 s[4:5], s[0:1], -1
	v_add_u32_e32 v0, 0x9100, v5
	v_pk_mov_b32 v[18:19], s[22:23], s[22:23] op_sel:[0,1]
	s_cbranch_vccnz .LBB27_2
; %bb.1:
	v_pk_mov_b32 v[2:3], s[20:21], s[20:21] op_sel:[0,1]
	flat_load_dwordx2 v[18:19], v[2:3] offset:8
.LBB27_2:
	s_and_b64 s[10:11], s[0:1], exec
	s_cselect_b32 s2, s3, s17
	v_mov_b32_e32 v1, s16
	v_cndmask_b32_e64 v0, v1, v0, s[0:1]
	v_mov_b32_e32 v1, s2
	flat_load_dwordx2 v[20:21], v[0:1]
	s_andn2_b64 vcc, exec, s[4:5]
	v_pk_mov_b32 v[22:23], s[18:19], s[18:19] op_sel:[0,1]
	s_cbranch_vccnz .LBB27_4
; %bb.3:
	v_pk_mov_b32 v[0:1], s[16:17], s[16:17] op_sel:[0,1]
	flat_load_dwordx2 v[22:23], v[0:1] offset:8
.LBB27_4:
	s_load_dwordx4 s[16:19], s[6:7], 0x0
	s_lshl_b32 s0, s8, 2
	v_lshrrev_b32_e32 v9, 6, v8
	s_and_b32 s0, s0, 0x3fffffc
	v_or_b32_e32 v0, s0, v9
	s_waitcnt lgkmcnt(0)
	v_cmp_gt_i32_e32 vcc, s17, v0
	s_and_saveexec_b64 s[0:1], vcc
	s_cbranch_execz .LBB27_39
; %bb.5:
	s_load_dwordx4 s[8:11], s[6:7], 0x20
	s_load_dwordx4 s[20:23], s[6:7], 0x48
	s_load_dwordx2 s[0:1], s[6:7], 0x60
	v_lshlrev_b32_e32 v4, 2, v0
	s_waitcnt lgkmcnt(0)
	global_load_dwordx2 v[0:1], v4, s[8:9]
	global_load_dwordx2 v[2:3], v4, s[20:21]
	global_load_dword v10, v4, s[0:1]
	s_waitcnt vmcnt(0)
	v_subrev_u32_e32 v4, s12, v0
	v_cmp_lt_i32_e32 vcc, v0, v1
	v_mov_b32_e32 v0, s18
	s_and_saveexec_b64 s[0:1], vcc
	s_cbranch_execz .LBB27_7
; %bb.6:
	v_ashrrev_i32_e32 v5, 31, v4
	v_lshlrev_b64 v[6:7], 2, v[4:5]
	v_mov_b32_e32 v0, s11
	v_add_co_u32_e32 v6, vcc, s10, v6
	v_addc_co_u32_e32 v7, vcc, v0, v7, vcc
	global_load_dword v0, v[6:7], off
	s_waitcnt vmcnt(0)
	v_subrev_u32_e32 v0, s12, v0
.LBB27_7:
	s_or_b64 exec, exec, s[0:1]
	s_load_dwordx4 s[24:27], s[6:7], 0x68
	s_load_dwordx2 s[8:9], s[6:7], 0x58
	s_load_dwordx2 s[20:21], s[6:7], 0x30
	v_subrev_u32_e32 v6, s13, v2
	v_cmp_lt_i32_e32 vcc, v2, v3
	v_mov_b32_e32 v2, s18
	s_and_saveexec_b64 s[0:1], vcc
	s_cbranch_execz .LBB27_9
; %bb.8:
	v_ashrrev_i32_e32 v7, 31, v6
	v_lshlrev_b64 v[12:13], 2, v[6:7]
	v_mov_b32_e32 v2, s23
	v_add_co_u32_e32 v12, vcc, s22, v12
	v_addc_co_u32_e32 v13, vcc, v2, v13, vcc
	global_load_dword v2, v[12:13], off
	s_waitcnt vmcnt(0)
	v_subrev_u32_e32 v2, s13, v2
.LBB27_9:
	s_or_b64 exec, exec, s[0:1]
	v_and_b32_e32 v5, 0xc0, v8
	v_min_i32_e32 v70, v2, v0
	v_mbcnt_lo_u32_b32 v0, -1, 0
	v_or_b32_e32 v46, 0x9000, v5
	v_mul_u32_u24_e32 v5, 0x240, v9
	v_subrev_u32_e32 v48, s12, v1
	v_and_b32_e32 v1, 63, v8
	v_mbcnt_hi_u32_b32 v0, -1, v0
	v_lshlrev_b32_e32 v47, 4, v5
	v_and_b32_e32 v2, 64, v0
	v_xor_b32_e32 v5, 63, v1
	v_add_u32_e32 v2, 64, v2
	v_lshrrev_b64 v[30:31], v5, -1
	v_xor_b32_e32 v5, 32, v0
	v_cmp_lt_i32_e64 s[0:1], v5, v2
	v_xor_b32_e32 v9, 16, v0
	v_cndmask_b32_e64 v5, v0, v5, s[0:1]
	v_cmp_lt_i32_e64 s[0:1], v9, v2
	v_cndmask_b32_e64 v9, v0, v9, s[0:1]
	v_lshlrev_b32_e32 v56, 2, v9
	v_xor_b32_e32 v9, 8, v0
	v_cmp_lt_i32_e64 s[0:1], v9, v2
	v_cndmask_b32_e64 v9, v0, v9, s[0:1]
	v_lshlrev_b32_e32 v57, 2, v9
	v_xor_b32_e32 v9, 4, v0
	;; [unrolled: 4-line block ×3, first 2 shown]
	v_cmp_lt_i32_e64 s[0:1], v9, v2
	v_cndmask_b32_e64 v9, v0, v9, s[0:1]
	s_movk_i32 s19, 0x90
	s_cmp_eq_u32 s16, 0
	v_lshlrev_b32_e32 v59, 2, v9
	v_xor_b32_e32 v9, 1, v0
	v_mad_u32_u24 v51, v1, s19, v47
	s_mov_b32 s4, 0
	s_cselect_b64 vcc, -1, 0
	s_cmp_lg_u32 s16, 0
	v_cmp_lt_i32_e64 s[0:1], v9, v2
	v_subrev_u32_e32 v49, s13, v3
	v_add_u32_e32 v24, v4, v1
	v_add_u32_e32 v3, 16, v51
	v_add_u32_e32 v4, 48, v51
	v_cndmask_b32_e64 v0, v0, v9, s[0:1]
	s_mov_b32 s5, s4
	s_cselect_b64 s[0:1], -1, 0
	v_add_u32_e32 v26, v6, v1
	v_add_u32_e32 v52, s14, v1
	v_lshlrev_b32_e32 v53, 2, v5
	v_add_u32_e32 v5, 32, v51
	v_add_u32_e32 v6, 0x50, v51
	;; [unrolled: 1-line block ×4, first 2 shown]
	v_lshlrev_b32_e32 v60, 2, v0
	v_cndmask_b32_e32 v61, v4, v3, vcc
	v_cndmask_b32_e32 v63, v3, v4, vcc
	v_add_u32_e32 v67, v46, v1
	s_mov_b32 s6, s4
	s_mov_b32 s7, s4
	v_pk_mov_b32 v[0:1], s[4:5], s[4:5] op_sel:[0,1]
	v_cndmask_b32_e64 v4, 0, 1, s[0:1]
	v_subrev_u32_e32 v50, s14, v10
	v_mov_b32_e32 v29, 0
	v_add_u32_e32 v54, 64, v51
	v_add_u32_e32 v55, 0x80, v51
	v_cndmask_b32_e32 v62, v7, v5, vcc
	v_cndmask_b32_e32 v64, v8, v6, vcc
	;; [unrolled: 1-line block ×4, first 2 shown]
	s_mov_b64 s[14:15], 0
	v_pk_mov_b32 v[2:3], s[6:7], s[6:7] op_sel:[0,1]
	v_cmp_ne_u32_e64 s[0:1], 1, v4
	v_mov_b32_e32 v68, 1
	s_branch .LBB27_11
.LBB27_10:                              ;   in Loop: Header=BB27_11 Depth=1
	s_or_b64 exec, exec, s[4:5]
	ds_bpermute_b32 v4, v53, v69
	s_bcnt1_i32_b64 s2, vcc
	v_add_u32_e32 v50, s2, v50
	s_waitcnt lgkmcnt(0)
	v_min_i32_e32 v4, v4, v69
	ds_bpermute_b32 v5, v56, v4
	s_waitcnt lgkmcnt(0)
	v_min_i32_e32 v4, v5, v4
	ds_bpermute_b32 v5, v57, v4
	;; [unrolled: 3-line block ×5, first 2 shown]
	s_waitcnt lgkmcnt(0)
	v_min_i32_e32 v70, v5, v4
	v_cmp_le_i32_e32 vcc, s18, v70
	s_or_b64 s[14:15], vcc, s[14:15]
	s_andn2_b64 exec, exec, s[14:15]
	s_cbranch_execz .LBB27_39
.LBB27_11:                              ; =>This Loop Header: Depth=1
                                        ;     Child Loop BB27_14 Depth 2
                                        ;     Child Loop BB27_27 Depth 2
	v_cmp_lt_i32_e32 vcc, v24, v48
	v_mov_b32_e32 v69, s18
	ds_write_b8 v67, v29
	ds_write_b128 v51, v[0:3]
	ds_write_b128 v51, v[0:3] offset:16
	ds_write_b128 v51, v[0:3] offset:32
	;; [unrolled: 1-line block ×8, first 2 shown]
	s_waitcnt lgkmcnt(0)
	s_and_saveexec_b64 s[4:5], vcc
	s_cbranch_execz .LBB27_24
; %bb.12:                               ;   in Loop: Header=BB27_11 Depth=1
	v_mad_u64_u32 v[4:5], s[2:3], v24, 9, 8
	s_mov_b64 s[6:7], 0
	v_mov_b32_e32 v69, s18
	s_branch .LBB27_14
.LBB27_13:                              ;   in Loop: Header=BB27_14 Depth=2
	s_or_b64 exec, exec, s[28:29]
	s_and_b64 s[2:3], exec, s[16:17]
	s_or_b64 s[6:7], s[2:3], s[6:7]
	s_andn2_b64 exec, exec, s[6:7]
	s_cbranch_execz .LBB27_23
.LBB27_14:                              ;   Parent Loop BB27_11 Depth=1
                                        ; =>  This Inner Loop Header: Depth=2
	v_ashrrev_i32_e32 v25, 31, v24
	v_lshlrev_b64 v[6:7], 2, v[24:25]
	v_mov_b32_e32 v5, s11
	v_add_co_u32_e32 v6, vcc, s10, v6
	v_addc_co_u32_e32 v7, vcc, v5, v7, vcc
	global_load_dword v5, v[6:7], off
	s_waitcnt vmcnt(0)
	v_subrev_u32_e32 v6, s12, v5
	v_sub_u32_e32 v5, v6, v70
	v_cmp_gt_u32_e64 s[2:3], 64, v5
	v_cmp_lt_u32_e32 vcc, 63, v5
	s_and_saveexec_b64 s[16:17], vcc
	s_xor_b64 s[16:17], exec, s[16:17]
; %bb.15:                               ;   in Loop: Header=BB27_14 Depth=2
	v_min_i32_e32 v69, v6, v69
                                        ; implicit-def: $vgpr5
; %bb.16:                               ;   in Loop: Header=BB27_14 Depth=2
	s_andn2_saveexec_b64 s[16:17], s[16:17]
	s_cbranch_execz .LBB27_21
; %bb.17:                               ;   in Loop: Header=BB27_14 Depth=2
	v_add_u32_e32 v28, -8, v4
	v_lshlrev_b64 v[6:7], 4, v[28:29]
	v_mov_b32_e32 v8, s21
	v_add_co_u32_e32 v6, vcc, s20, v6
	v_addc_co_u32_e32 v7, vcc, v8, v7, vcc
	global_load_dwordx4 v[34:37], v[6:7], off
	v_add_u32_e32 v7, v46, v5
	v_mul_lo_u32 v5, v5, s19
	s_and_b64 vcc, exec, s[0:1]
	v_add_u32_e32 v8, -2, v4
	v_add_u32_e32 v32, -7, v4
	;; [unrolled: 1-line block ×5, first 2 shown]
	v_add_u32_e32 v25, v47, v5
	v_add_u32_e32 v28, -5, v4
	v_add_u32_e32 v10, -3, v4
	ds_write_b8 v7, v68
	s_waitcnt vmcnt(0)
	v_mul_f64 v[38:39], v[36:37], -v[18:19]
	v_mul_f64 v[40:41], v[16:17], v[36:37]
	v_fmac_f64_e32 v[38:39], v[16:17], v[34:35]
	v_fmac_f64_e32 v[40:41], v[18:19], v[34:35]
	ds_write_b128 v25, v[38:41]
	s_cbranch_vccnz .LBB27_19
; %bb.18:                               ;   in Loop: Header=BB27_14 Depth=2
	v_lshlrev_b64 v[34:35], 4, v[28:29]
	v_mov_b32_e32 v27, s21
	v_add_co_u32_e32 v42, vcc, s20, v34
	v_mov_b32_e32 v9, v29
	v_addc_co_u32_e32 v43, vcc, v27, v35, vcc
	v_lshlrev_b64 v[34:35], 4, v[8:9]
	v_add_co_u32_e32 v44, vcc, s20, v34
	v_mov_b32_e32 v33, v29
	v_addc_co_u32_e32 v45, vcc, v27, v35, vcc
	global_load_dwordx4 v[34:37], v[42:43], off
	global_load_dwordx4 v[38:41], v[44:45], off
	v_lshlrev_b64 v[42:43], 4, v[32:33]
	v_add_co_u32_e32 v76, vcc, s20, v42
	v_mov_b32_e32 v13, v29
	v_addc_co_u32_e32 v77, vcc, v27, v43, vcc
	v_lshlrev_b64 v[42:43], 4, v[12:13]
	v_add_co_u32_e32 v78, vcc, s20, v42
	v_mov_b32_e32 v7, v29
	v_addc_co_u32_e32 v79, vcc, v27, v43, vcc
	global_load_dwordx4 v[42:45], v[76:77], off
	global_load_dwordx4 v[72:75], v[78:79], off
	v_lshlrev_b64 v[76:77], 4, v[6:7]
	v_add_co_u32_e32 v76, vcc, s20, v76
	v_mov_b32_e32 v15, v29
	v_addc_co_u32_e32 v77, vcc, v27, v77, vcc
	v_lshlrev_b64 v[80:81], 4, v[14:15]
	v_add_co_u32_e32 v80, vcc, s20, v80
	v_mov_b32_e32 v11, v29
	v_addc_co_u32_e32 v81, vcc, v27, v81, vcc
	v_lshlrev_b64 v[84:85], 4, v[10:11]
	v_add_co_u32_e32 v84, vcc, s20, v84
	v_mov_b32_e32 v5, v29
	global_load_dwordx4 v[76:79], v[76:77], off
	v_addc_co_u32_e32 v85, vcc, v27, v85, vcc
	global_load_dwordx4 v[80:83], v[80:81], off
	v_lshlrev_b64 v[88:89], 4, v[4:5]
	global_load_dwordx4 v[84:87], v[84:85], off
	v_add_co_u32_e32 v88, vcc, s20, v88
	v_addc_co_u32_e32 v89, vcc, v27, v89, vcc
	global_load_dwordx4 v[88:91], v[88:89], off
	s_waitcnt vmcnt(7)
	v_mul_f64 v[92:93], v[36:37], -v[18:19]
	v_mul_f64 v[94:95], v[16:17], v[36:37]
	v_fmac_f64_e32 v[92:93], v[16:17], v[34:35]
	v_fmac_f64_e32 v[94:95], v[18:19], v[34:35]
	s_waitcnt vmcnt(6)
	v_mul_f64 v[34:35], v[40:41], -v[18:19]
	v_mul_f64 v[36:37], v[16:17], v[40:41]
	v_fmac_f64_e32 v[34:35], v[16:17], v[38:39]
	v_fmac_f64_e32 v[36:37], v[18:19], v[38:39]
	ds_write_b128 v25, v[92:95] offset:16
	s_waitcnt vmcnt(5)
	v_mul_f64 v[96:97], v[44:45], -v[18:19]
	v_mul_f64 v[98:99], v[16:17], v[44:45]
	s_waitcnt vmcnt(4)
	v_mul_f64 v[100:101], v[74:75], -v[18:19]
	v_mul_f64 v[102:103], v[16:17], v[74:75]
	v_fmac_f64_e32 v[96:97], v[16:17], v[42:43]
	v_fmac_f64_e32 v[98:99], v[18:19], v[42:43]
	;; [unrolled: 1-line block ×4, first 2 shown]
	s_waitcnt vmcnt(3)
	v_mul_f64 v[104:105], v[78:79], -v[18:19]
	v_mul_f64 v[106:107], v[16:17], v[78:79]
	v_fmac_f64_e32 v[104:105], v[16:17], v[76:77]
	s_waitcnt vmcnt(2)
	v_mul_f64 v[108:109], v[82:83], -v[18:19]
	v_mul_f64 v[110:111], v[16:17], v[82:83]
	v_fmac_f64_e32 v[106:107], v[18:19], v[76:77]
	v_fmac_f64_e32 v[108:109], v[16:17], v[80:81]
	;; [unrolled: 1-line block ×3, first 2 shown]
	ds_write_b128 v25, v[34:37] offset:32
	ds_write_b128 v25, v[96:99] offset:48
	;; [unrolled: 1-line block ×5, first 2 shown]
	s_waitcnt vmcnt(1)
	v_mul_f64 v[34:35], v[86:87], -v[18:19]
	v_mul_f64 v[36:37], v[16:17], v[86:87]
	v_fmac_f64_e32 v[34:35], v[16:17], v[84:85]
	v_fmac_f64_e32 v[36:37], v[18:19], v[84:85]
	ds_write_b128 v25, v[34:37] offset:112
	s_waitcnt vmcnt(0)
	v_mul_f64 v[34:35], v[90:91], -v[18:19]
	v_mul_f64 v[36:37], v[16:17], v[90:91]
	v_fmac_f64_e32 v[34:35], v[16:17], v[88:89]
	v_fmac_f64_e32 v[36:37], v[18:19], v[88:89]
	ds_write_b128 v25, v[34:37] offset:128
	s_cbranch_execz .LBB27_20
	s_branch .LBB27_21
.LBB27_19:                              ;   in Loop: Header=BB27_14 Depth=2
.LBB27_20:                              ;   in Loop: Header=BB27_14 Depth=2
	v_mov_b32_e32 v33, v29
	v_lshlrev_b64 v[32:33], 4, v[32:33]
	v_mov_b32_e32 v27, s21
	v_add_co_u32_e32 v40, vcc, s20, v32
	v_mov_b32_e32 v15, v29
	v_addc_co_u32_e32 v41, vcc, v27, v33, vcc
	v_lshlrev_b64 v[14:15], 4, v[14:15]
	v_add_co_u32_e32 v14, vcc, s20, v14
	v_addc_co_u32_e32 v15, vcc, v27, v15, vcc
	global_load_dwordx4 v[32:35], v[40:41], off
	global_load_dwordx4 v[36:39], v[14:15], off
	v_lshlrev_b64 v[14:15], 4, v[28:29]
	v_add_co_u32_e32 v44, vcc, s20, v14
	v_mov_b32_e32 v13, v29
	v_addc_co_u32_e32 v45, vcc, v27, v15, vcc
	v_lshlrev_b64 v[12:13], 4, v[12:13]
	v_add_co_u32_e32 v72, vcc, s20, v12
	v_mov_b32_e32 v11, v29
	v_addc_co_u32_e32 v73, vcc, v27, v13, vcc
	v_lshlrev_b64 v[10:11], 4, v[10:11]
	v_add_co_u32_e32 v10, vcc, s20, v10
	v_mov_b32_e32 v9, v29
	v_addc_co_u32_e32 v11, vcc, v27, v11, vcc
	v_lshlrev_b64 v[8:9], 4, v[8:9]
	v_add_co_u32_e32 v8, vcc, s20, v8
	v_mov_b32_e32 v7, v29
	v_addc_co_u32_e32 v9, vcc, v27, v9, vcc
	v_lshlrev_b64 v[6:7], 4, v[6:7]
	v_add_co_u32_e32 v6, vcc, s20, v6
	v_addc_co_u32_e32 v7, vcc, v27, v7, vcc
	v_mov_b32_e32 v5, v29
	global_load_dwordx4 v[12:15], v[44:45], off
	global_load_dwordx4 v[40:43], v[72:73], off
	global_load_dwordx4 v[76:79], v[6:7], off
	v_lshlrev_b64 v[6:7], 4, v[4:5]
	global_load_dwordx4 v[72:75], v[10:11], off
	v_add_co_u32_e32 v6, vcc, s20, v6
	global_load_dwordx4 v[8:11], v[8:9], off
	v_addc_co_u32_e32 v7, vcc, v27, v7, vcc
	global_load_dwordx4 v[80:83], v[6:7], off
	s_waitcnt vmcnt(7)
	v_mul_f64 v[88:89], v[34:35], -v[18:19]
	v_mul_f64 v[90:91], v[16:17], v[34:35]
	s_waitcnt vmcnt(6)
	v_mul_f64 v[92:93], v[38:39], -v[18:19]
	v_mul_f64 v[94:95], v[16:17], v[38:39]
	v_fmac_f64_e32 v[88:89], v[16:17], v[32:33]
	v_fmac_f64_e32 v[90:91], v[18:19], v[32:33]
	;; [unrolled: 1-line block ×4, first 2 shown]
	s_waitcnt vmcnt(5)
	v_mul_f64 v[84:85], v[14:15], -v[18:19]
	v_mul_f64 v[86:87], v[16:17], v[14:15]
	s_waitcnt vmcnt(3)
	v_mul_f64 v[6:7], v[78:79], -v[18:19]
	v_fmac_f64_e32 v[84:85], v[16:17], v[12:13]
	v_fmac_f64_e32 v[86:87], v[18:19], v[12:13]
	v_mul_f64 v[12:13], v[42:43], -v[18:19]
	v_mul_f64 v[14:15], v[16:17], v[42:43]
	s_waitcnt vmcnt(1)
	v_mul_f64 v[96:97], v[10:11], -v[18:19]
	v_mul_f64 v[98:99], v[16:17], v[10:11]
	v_fmac_f64_e32 v[96:97], v[16:17], v[8:9]
	v_fmac_f64_e32 v[98:99], v[18:19], v[8:9]
	v_mul_f64 v[8:9], v[16:17], v[78:79]
	v_mul_f64 v[42:43], v[74:75], -v[18:19]
	v_mul_f64 v[44:45], v[16:17], v[74:75]
	v_fmac_f64_e32 v[6:7], v[16:17], v[76:77]
	v_fmac_f64_e32 v[8:9], v[18:19], v[76:77]
	ds_write_b128 v25, v[84:87] offset:48
	v_fmac_f64_e32 v[12:13], v[16:17], v[40:41]
	v_fmac_f64_e32 v[14:15], v[18:19], v[40:41]
	;; [unrolled: 1-line block ×4, first 2 shown]
	ds_write_b128 v25, v[88:91] offset:16
	ds_write_b128 v25, v[92:95] offset:32
	;; [unrolled: 1-line block ×6, first 2 shown]
	s_waitcnt vmcnt(0)
	v_mul_f64 v[6:7], v[82:83], -v[18:19]
	v_mul_f64 v[8:9], v[16:17], v[82:83]
	v_fmac_f64_e32 v[6:7], v[16:17], v[80:81]
	v_fmac_f64_e32 v[8:9], v[18:19], v[80:81]
	ds_write_b128 v25, v[6:9] offset:128
.LBB27_21:                              ;   in Loop: Header=BB27_14 Depth=2
	s_or_b64 exec, exec, s[16:17]
	s_mov_b64 s[16:17], -1
	s_and_saveexec_b64 s[28:29], s[2:3]
	s_cbranch_execz .LBB27_13
; %bb.22:                               ;   in Loop: Header=BB27_14 Depth=2
	v_add_u32_e32 v24, 64, v24
	v_cmp_ge_i32_e32 vcc, v24, v48
	v_add_u32_e32 v4, 0x240, v4
	s_orn2_b64 s[16:17], vcc, exec
	s_branch .LBB27_13
.LBB27_23:                              ;   in Loop: Header=BB27_11 Depth=1
	s_or_b64 exec, exec, s[6:7]
.LBB27_24:                              ;   in Loop: Header=BB27_11 Depth=1
	s_or_b64 exec, exec, s[4:5]
	v_cmp_lt_i32_e32 vcc, v26, v49
	s_waitcnt lgkmcnt(0)
	s_and_saveexec_b64 s[4:5], vcc
	s_cbranch_execz .LBB27_37
; %bb.25:                               ;   in Loop: Header=BB27_11 Depth=1
	v_mad_u64_u32 v[32:33], s[2:3], v26, 9, 8
	s_mov_b64 s[6:7], 0
	s_branch .LBB27_27
.LBB27_26:                              ;   in Loop: Header=BB27_27 Depth=2
	s_or_b64 exec, exec, s[28:29]
	s_and_b64 s[2:3], exec, s[16:17]
	s_or_b64 s[6:7], s[2:3], s[6:7]
	s_andn2_b64 exec, exec, s[6:7]
	s_cbranch_execz .LBB27_36
.LBB27_27:                              ;   Parent Loop BB27_11 Depth=1
                                        ; =>  This Inner Loop Header: Depth=2
	v_ashrrev_i32_e32 v27, 31, v26
	s_waitcnt lgkmcnt(1)
	v_lshlrev_b64 v[4:5], 2, v[26:27]
	v_mov_b32_e32 v6, s23
	v_add_co_u32_e32 v4, vcc, s22, v4
	v_addc_co_u32_e32 v5, vcc, v6, v5, vcc
	global_load_dword v4, v[4:5], off
	s_waitcnt vmcnt(0)
	v_subrev_u32_e32 v5, s13, v4
	v_sub_u32_e32 v4, v5, v70
	v_cmp_gt_u32_e64 s[2:3], 64, v4
	v_cmp_lt_u32_e32 vcc, 63, v4
	s_and_saveexec_b64 s[16:17], vcc
	s_xor_b64 s[16:17], exec, s[16:17]
; %bb.28:                               ;   in Loop: Header=BB27_27 Depth=2
	v_min_i32_e32 v69, v5, v69
                                        ; implicit-def: $vgpr4
; %bb.29:                               ;   in Loop: Header=BB27_27 Depth=2
	s_andn2_saveexec_b64 s[16:17], s[16:17]
	s_cbranch_execz .LBB27_34
; %bb.30:                               ;   in Loop: Header=BB27_27 Depth=2
	v_add_u32_e32 v28, -8, v32
	v_lshlrev_b64 v[6:7], 4, v[28:29]
	v_mov_b32_e32 v5, s9
	v_add_co_u32_e32 v6, vcc, s8, v6
	v_addc_co_u32_e32 v7, vcc, v5, v7, vcc
	global_load_dwordx4 v[8:11], v[6:7], off
	v_add_u32_e32 v5, v46, v4
	v_mul_lo_u32 v4, v4, s19
	v_add_u32_e32 v25, v47, v4
	ds_read_b128 v[12:15], v25
	ds_write_b8 v5, v68
	ds_read_b128 v[4:7], v25 offset:16
	s_and_b64 vcc, exec, s[0:1]
	v_add_u32_e32 v36, -2, v32
	v_add_u32_e32 v44, -7, v32
	;; [unrolled: 1-line block ×7, first 2 shown]
	s_waitcnt vmcnt(0) lgkmcnt(2)
	v_fmac_f64_e32 v[12:13], v[20:21], v[8:9]
	v_fmac_f64_e32 v[14:15], v[22:23], v[8:9]
	v_fma_f64 v[12:13], -v[22:23], v[10:11], v[12:13]
	v_fmac_f64_e32 v[14:15], v[20:21], v[10:11]
	ds_write_b128 v25, v[12:15]
	s_cbranch_vccnz .LBB27_32
; %bb.31:                               ;   in Loop: Header=BB27_27 Depth=2
	v_lshlrev_b64 v[8:9], 4, v[28:29]
	v_mov_b32_e32 v27, s9
	v_add_co_u32_e32 v72, vcc, s8, v8
	v_mov_b32_e32 v37, v29
	v_addc_co_u32_e32 v73, vcc, v27, v9, vcc
	v_lshlrev_b64 v[8:9], 4, v[36:37]
	v_add_co_u32_e32 v74, vcc, s8, v8
	v_mov_b32_e32 v45, v29
	v_addc_co_u32_e32 v75, vcc, v27, v9, vcc
	global_load_dwordx4 v[12:15], v[72:73], off
	global_load_dwordx4 v[8:11], v[74:75], off
	v_lshlrev_b64 v[72:73], 4, v[44:45]
	v_add_co_u32_e32 v80, vcc, s8, v72
	v_mov_b32_e32 v41, v29
	v_addc_co_u32_e32 v81, vcc, v27, v73, vcc
	v_lshlrev_b64 v[72:73], 4, v[40:41]
	v_add_co_u32_e32 v82, vcc, s8, v72
	v_mov_b32_e32 v35, v29
	v_addc_co_u32_e32 v83, vcc, v27, v73, vcc
	global_load_dwordx4 v[72:75], v[80:81], off
	global_load_dwordx4 v[76:79], v[82:83], off
	v_lshlrev_b64 v[80:81], 4, v[34:35]
	v_add_co_u32_e32 v80, vcc, s8, v80
	v_mov_b32_e32 v43, v29
	v_addc_co_u32_e32 v81, vcc, v27, v81, vcc
	v_lshlrev_b64 v[84:85], 4, v[42:43]
	v_add_co_u32_e32 v84, vcc, s8, v84
	v_addc_co_u32_e32 v85, vcc, v27, v85, vcc
	global_load_dwordx4 v[80:83], v[80:81], off
	v_mov_b32_e32 v39, v29
	global_load_dwordx4 v[84:87], v[84:85], off
	v_lshlrev_b64 v[88:89], 4, v[38:39]
	v_add_co_u32_e32 v88, vcc, s8, v88
	v_mov_b32_e32 v33, v29
	v_addc_co_u32_e32 v89, vcc, v27, v89, vcc
	v_lshlrev_b64 v[92:93], 4, v[32:33]
	v_add_co_u32_e32 v92, vcc, s8, v92
	v_addc_co_u32_e32 v93, vcc, v27, v93, vcc
	global_load_dwordx4 v[88:91], v[88:89], off
	s_nop 0
	global_load_dwordx4 v[92:95], v[92:93], off
	ds_read_b128 v[96:99], v25 offset:32
	ds_read_b128 v[100:103], v25 offset:48
	;; [unrolled: 1-line block ×4, first 2 shown]
	s_waitcnt vmcnt(7) lgkmcnt(5)
	v_fma_f64 v[112:113], v[20:21], v[12:13], v[4:5]
	s_waitcnt vmcnt(6) lgkmcnt(3)
	v_fmac_f64_e32 v[96:97], v[20:21], v[8:9]
	v_fmac_f64_e32 v[98:99], v[22:23], v[8:9]
	v_fma_f64 v[96:97], -v[22:23], v[10:11], v[96:97]
	v_fmac_f64_e32 v[98:99], v[20:21], v[10:11]
	ds_read_b128 v[8:11], v25 offset:96
	v_fma_f64 v[114:115], v[22:23], v[12:13], v[6:7]
	v_fma_f64 v[112:113], -v[22:23], v[14:15], v[112:113]
	v_fmac_f64_e32 v[114:115], v[20:21], v[14:15]
	ds_write_b128 v25, v[112:115] offset:16
	ds_write_b128 v25, v[96:99] offset:32
	s_waitcnt vmcnt(5) lgkmcnt(5)
	v_fmac_f64_e32 v[100:101], v[20:21], v[72:73]
	v_fmac_f64_e32 v[102:103], v[22:23], v[72:73]
	s_waitcnt vmcnt(4) lgkmcnt(4)
	v_fmac_f64_e32 v[104:105], v[20:21], v[76:77]
	v_fmac_f64_e32 v[106:107], v[22:23], v[76:77]
	v_fma_f64 v[100:101], -v[22:23], v[74:75], v[100:101]
	v_fmac_f64_e32 v[102:103], v[20:21], v[74:75]
	v_fma_f64 v[104:105], -v[22:23], v[78:79], v[104:105]
	v_fmac_f64_e32 v[106:107], v[20:21], v[78:79]
	s_waitcnt vmcnt(3) lgkmcnt(3)
	v_fmac_f64_e32 v[108:109], v[20:21], v[80:81]
	v_fmac_f64_e32 v[110:111], v[22:23], v[80:81]
	s_waitcnt vmcnt(2) lgkmcnt(2)
	v_fmac_f64_e32 v[8:9], v[20:21], v[84:85]
	v_fmac_f64_e32 v[10:11], v[22:23], v[84:85]
	v_fma_f64 v[108:109], -v[22:23], v[82:83], v[108:109]
	v_fmac_f64_e32 v[110:111], v[20:21], v[82:83]
	ds_write_b128 v25, v[100:103] offset:48
	ds_write_b128 v25, v[104:107] offset:64
	;; [unrolled: 1-line block ×3, first 2 shown]
	v_fma_f64 v[8:9], -v[22:23], v[86:87], v[8:9]
	v_fmac_f64_e32 v[10:11], v[20:21], v[86:87]
	ds_read_b128 v[12:15], v25 offset:112
	ds_write_b128 v25, v[8:11] offset:96
	ds_read_b128 v[8:11], v25 offset:128
	s_waitcnt vmcnt(1) lgkmcnt(2)
	v_fmac_f64_e32 v[12:13], v[20:21], v[88:89]
	v_fmac_f64_e32 v[14:15], v[22:23], v[88:89]
	s_waitcnt vmcnt(0) lgkmcnt(0)
	v_fmac_f64_e32 v[8:9], v[20:21], v[92:93]
	v_fmac_f64_e32 v[10:11], v[22:23], v[92:93]
	v_fma_f64 v[12:13], -v[22:23], v[90:91], v[12:13]
	v_fmac_f64_e32 v[14:15], v[20:21], v[90:91]
	v_fma_f64 v[8:9], -v[22:23], v[94:95], v[8:9]
	v_fmac_f64_e32 v[10:11], v[20:21], v[94:95]
	ds_write_b128 v25, v[12:15] offset:112
	ds_write_b128 v25, v[8:11] offset:128
	s_cbranch_execz .LBB27_33
	s_branch .LBB27_34
.LBB27_32:                              ;   in Loop: Header=BB27_27 Depth=2
.LBB27_33:                              ;   in Loop: Header=BB27_27 Depth=2
	v_mov_b32_e32 v45, v29
	v_lshlrev_b64 v[8:9], 4, v[44:45]
	v_mov_b32_e32 v27, s9
	v_add_co_u32_e32 v44, vcc, s8, v8
	v_mov_b32_e32 v43, v29
	v_addc_co_u32_e32 v45, vcc, v27, v9, vcc
	v_lshlrev_b64 v[8:9], 4, v[42:43]
	v_add_co_u32_e32 v42, vcc, s8, v8
	v_addc_co_u32_e32 v43, vcc, v27, v9, vcc
	global_load_dwordx4 v[8:11], v[44:45], off
	global_load_dwordx4 v[12:15], v[42:43], off
	v_lshlrev_b64 v[42:43], 4, v[28:29]
	v_add_co_u32_e32 v42, vcc, s8, v42
	v_mov_b32_e32 v41, v29
	v_addc_co_u32_e32 v43, vcc, v27, v43, vcc
	v_lshlrev_b64 v[40:41], 4, v[40:41]
	v_add_co_u32_e32 v40, vcc, s8, v40
	v_mov_b32_e32 v39, v29
	v_addc_co_u32_e32 v41, vcc, v27, v41, vcc
	v_lshlrev_b64 v[38:39], 4, v[38:39]
	v_add_co_u32_e32 v38, vcc, s8, v38
	v_mov_b32_e32 v37, v29
	v_addc_co_u32_e32 v39, vcc, v27, v39, vcc
	v_lshlrev_b64 v[36:37], 4, v[36:37]
	v_add_co_u32_e32 v36, vcc, s8, v36
	global_load_dwordx4 v[42:45], v[42:43], off
	v_addc_co_u32_e32 v37, vcc, v27, v37, vcc
	global_load_dwordx4 v[72:75], v[40:41], off
	global_load_dwordx4 v[76:79], v[36:37], off
	v_mov_b32_e32 v35, v29
	global_load_dwordx4 v[38:41], v[38:39], off
	v_lshlrev_b64 v[34:35], 4, v[34:35]
	v_add_co_u32_e32 v34, vcc, s8, v34
	v_mov_b32_e32 v33, v29
	v_addc_co_u32_e32 v35, vcc, v27, v35, vcc
	global_load_dwordx4 v[34:37], v[34:35], off
	v_lshlrev_b64 v[80:81], 4, v[32:33]
	v_add_co_u32_e32 v80, vcc, s8, v80
	v_addc_co_u32_e32 v81, vcc, v27, v81, vcc
	global_load_dwordx4 v[80:83], v[80:81], off
	ds_read_b128 v[84:87], v25 offset:48
	ds_read_b128 v[88:91], v25 offset:32
	;; [unrolled: 1-line block ×4, first 2 shown]
	s_waitcnt vmcnt(7) lgkmcnt(5)
	v_fmac_f64_e32 v[4:5], v[20:21], v[8:9]
	v_fmac_f64_e32 v[6:7], v[22:23], v[8:9]
	v_fma_f64 v[4:5], -v[22:23], v[10:11], v[4:5]
	v_fmac_f64_e32 v[6:7], v[20:21], v[10:11]
	ds_write_b128 v25, v[4:7] offset:16
	ds_read_b128 v[4:7], v25 offset:96
	s_waitcnt vmcnt(6) lgkmcnt(4)
	v_fmac_f64_e32 v[88:89], v[20:21], v[12:13]
	v_fmac_f64_e32 v[90:91], v[22:23], v[12:13]
	v_fma_f64 v[88:89], -v[22:23], v[14:15], v[88:89]
	v_fmac_f64_e32 v[90:91], v[20:21], v[14:15]
	s_waitcnt vmcnt(5)
	v_fmac_f64_e32 v[84:85], v[20:21], v[42:43]
	v_fmac_f64_e32 v[86:87], v[22:23], v[42:43]
	v_fma_f64 v[84:85], -v[22:23], v[44:45], v[84:85]
	v_fmac_f64_e32 v[86:87], v[20:21], v[44:45]
	s_waitcnt vmcnt(4) lgkmcnt(3)
	v_fmac_f64_e32 v[92:93], v[20:21], v[72:73]
	v_fmac_f64_e32 v[94:95], v[22:23], v[72:73]
	s_waitcnt vmcnt(2) lgkmcnt(2)
	v_fmac_f64_e32 v[96:97], v[20:21], v[38:39]
	v_fmac_f64_e32 v[98:99], v[22:23], v[38:39]
	s_waitcnt lgkmcnt(0)
	v_fmac_f64_e32 v[4:5], v[20:21], v[76:77]
	v_fmac_f64_e32 v[6:7], v[22:23], v[76:77]
	ds_write_b128 v25, v[84:87] offset:48
	v_fma_f64 v[92:93], -v[22:23], v[74:75], v[92:93]
	v_fmac_f64_e32 v[94:95], v[20:21], v[74:75]
	v_fma_f64 v[96:97], -v[22:23], v[40:41], v[96:97]
	v_fmac_f64_e32 v[98:99], v[20:21], v[40:41]
	ds_write_b128 v25, v[88:91] offset:32
	ds_write_b128 v25, v[92:95] offset:64
	;; [unrolled: 1-line block ×3, first 2 shown]
	v_fma_f64 v[4:5], -v[22:23], v[78:79], v[4:5]
	v_fmac_f64_e32 v[6:7], v[20:21], v[78:79]
	ds_read_b128 v[8:11], v25 offset:112
	ds_write_b128 v25, v[4:7] offset:96
	ds_read_b128 v[4:7], v25 offset:128
	s_waitcnt vmcnt(1) lgkmcnt(2)
	v_fmac_f64_e32 v[8:9], v[20:21], v[34:35]
	v_fmac_f64_e32 v[10:11], v[22:23], v[34:35]
	s_waitcnt vmcnt(0) lgkmcnt(0)
	v_fmac_f64_e32 v[4:5], v[20:21], v[80:81]
	v_fmac_f64_e32 v[6:7], v[22:23], v[80:81]
	v_fma_f64 v[8:9], -v[22:23], v[36:37], v[8:9]
	v_fmac_f64_e32 v[10:11], v[20:21], v[36:37]
	v_fma_f64 v[4:5], -v[22:23], v[82:83], v[4:5]
	v_fmac_f64_e32 v[6:7], v[20:21], v[82:83]
	ds_write_b128 v25, v[8:11] offset:112
	ds_write_b128 v25, v[4:7] offset:128
.LBB27_34:                              ;   in Loop: Header=BB27_27 Depth=2
	s_or_b64 exec, exec, s[16:17]
	s_mov_b64 s[16:17], -1
	s_and_saveexec_b64 s[28:29], s[2:3]
	s_cbranch_execz .LBB27_26
; %bb.35:                               ;   in Loop: Header=BB27_27 Depth=2
	v_add_u32_e32 v26, 64, v26
	v_cmp_ge_i32_e32 vcc, v26, v49
	v_add_u32_e32 v32, 0x240, v32
	s_orn2_b64 s[16:17], vcc, exec
	s_branch .LBB27_26
.LBB27_36:                              ;   in Loop: Header=BB27_11 Depth=1
	s_or_b64 exec, exec, s[6:7]
.LBB27_37:                              ;   in Loop: Header=BB27_11 Depth=1
	s_or_b64 exec, exec, s[4:5]
	s_waitcnt lgkmcnt(0)
	ds_read_u8 v4, v67
	s_waitcnt lgkmcnt(0)
	v_and_b32_e32 v5, 1, v4
	v_cmp_eq_u32_e64 s[2:3], 1, v5
	v_cmp_ne_u16_e32 vcc, 0, v4
	s_and_saveexec_b64 s[4:5], s[2:3]
	s_cbranch_execz .LBB27_10
; %bb.38:                               ;   in Loop: Header=BB27_11 Depth=1
	v_and_b32_e32 v5, vcc_lo, v30
	v_and_b32_e32 v4, vcc_hi, v31
	v_bcnt_u32_b32 v5, v5, 0
	v_bcnt_u32_b32 v4, v4, v5
	v_add3_u32 v4, v50, v4, -1
	v_ashrrev_i32_e32 v5, 31, v4
	v_lshlrev_b64 v[6:7], 2, v[4:5]
	v_mov_b32_e32 v5, s25
	v_add_co_u32_e64 v6, s[2:3], s24, v6
	v_add_u32_e32 v8, v52, v70
	v_addc_co_u32_e64 v7, s[2:3], v5, v7, s[2:3]
	global_store_dword v[6:7], v8, off
	v_lshl_add_u32 v28, v4, 3, v4
	ds_read2_b64 v[4:7], v51 offset1:1
	v_lshlrev_b64 v[8:9], 4, v[28:29]
	v_mov_b32_e32 v25, s27
	v_add_co_u32_e64 v12, s[2:3], s26, v8
	v_addc_co_u32_e64 v13, s[2:3], v25, v9, s[2:3]
	ds_read2_b64 v[8:11], v54 offset1:1
	s_waitcnt lgkmcnt(1)
	global_store_dwordx4 v[12:13], v[4:7], off
	s_nop 0
	v_add_u32_e32 v4, 1, v28
	v_mov_b32_e32 v5, v29
	v_lshlrev_b64 v[4:5], 4, v[4:5]
	v_add_co_u32_e64 v36, s[2:3], s26, v4
	v_addc_co_u32_e64 v37, s[2:3], v25, v5, s[2:3]
	v_add_u32_e32 v4, 2, v28
	v_mov_b32_e32 v5, v29
	v_lshlrev_b64 v[4:5], 4, v[4:5]
	v_add_co_u32_e64 v38, s[2:3], s26, v4
	v_addc_co_u32_e64 v39, s[2:3], v25, v5, s[2:3]
	;; [unrolled: 5-line block ×7, first 2 shown]
	ds_read2_b64 v[4:7], v61 offset1:1
	ds_read2_b64 v[12:15], v62 offset1:1
	;; [unrolled: 1-line block ×3, first 2 shown]
	s_waitcnt lgkmcnt(2)
	global_store_dwordx4 v[36:37], v[4:7], off
	s_waitcnt lgkmcnt(1)
	global_store_dwordx4 v[38:39], v[12:15], off
	;; [unrolled: 2-line block ×3, first 2 shown]
	ds_read2_b64 v[4:7], v64 offset1:1
	ds_read2_b64 v[12:15], v65 offset1:1
	;; [unrolled: 1-line block ×4, first 2 shown]
	v_add_u32_e32 v28, 8, v28
	v_lshlrev_b64 v[74:75], 4, v[28:29]
	v_add_co_u32_e64 v74, s[2:3], s26, v74
	v_addc_co_u32_e64 v75, s[2:3], v25, v75, s[2:3]
	global_store_dwordx4 v[42:43], v[8:11], off
	s_waitcnt lgkmcnt(3)
	global_store_dwordx4 v[44:45], v[4:7], off
	s_waitcnt lgkmcnt(2)
	;; [unrolled: 2-line block ×4, first 2 shown]
	global_store_dwordx4 v[74:75], v[36:39], off
	s_branch .LBB27_10
.LBB27_39:
	s_endpgm
	.section	.rodata,"a",@progbits
	.p2align	6, 0x0
	.amdhsa_kernel _ZN9rocsparseL39bsrgeam_wf_per_row_multipass_2_3_kernelILj256ELj3ELj64E21rocsparse_complex_numIdEEEv20rocsparse_direction_iiiNS_24const_host_device_scalarIT2_EEPKiS8_PKS5_S6_S8_S8_SA_S8_PiPS5_21rocsparse_index_base_SD_SD_b
		.amdhsa_group_segment_fixed_size 41216
		.amdhsa_private_segment_fixed_size 0
		.amdhsa_kernarg_size 136
		.amdhsa_user_sgpr_count 8
		.amdhsa_user_sgpr_private_segment_buffer 1
		.amdhsa_user_sgpr_dispatch_ptr 1
		.amdhsa_user_sgpr_queue_ptr 0
		.amdhsa_user_sgpr_kernarg_segment_ptr 1
		.amdhsa_user_sgpr_dispatch_id 0
		.amdhsa_user_sgpr_flat_scratch_init 0
		.amdhsa_user_sgpr_kernarg_preload_length 0
		.amdhsa_user_sgpr_kernarg_preload_offset 0
		.amdhsa_user_sgpr_private_segment_size 0
		.amdhsa_uses_dynamic_stack 0
		.amdhsa_system_sgpr_private_segment_wavefront_offset 0
		.amdhsa_system_sgpr_workgroup_id_x 1
		.amdhsa_system_sgpr_workgroup_id_y 0
		.amdhsa_system_sgpr_workgroup_id_z 0
		.amdhsa_system_sgpr_workgroup_info 0
		.amdhsa_system_vgpr_workitem_id 2
		.amdhsa_next_free_vgpr 116
		.amdhsa_next_free_sgpr 30
		.amdhsa_accum_offset 116
		.amdhsa_reserve_vcc 1
		.amdhsa_reserve_flat_scratch 0
		.amdhsa_float_round_mode_32 0
		.amdhsa_float_round_mode_16_64 0
		.amdhsa_float_denorm_mode_32 3
		.amdhsa_float_denorm_mode_16_64 3
		.amdhsa_dx10_clamp 1
		.amdhsa_ieee_mode 1
		.amdhsa_fp16_overflow 0
		.amdhsa_tg_split 0
		.amdhsa_exception_fp_ieee_invalid_op 0
		.amdhsa_exception_fp_denorm_src 0
		.amdhsa_exception_fp_ieee_div_zero 0
		.amdhsa_exception_fp_ieee_overflow 0
		.amdhsa_exception_fp_ieee_underflow 0
		.amdhsa_exception_fp_ieee_inexact 0
		.amdhsa_exception_int_div_zero 0
	.end_amdhsa_kernel
	.section	.text._ZN9rocsparseL39bsrgeam_wf_per_row_multipass_2_3_kernelILj256ELj3ELj64E21rocsparse_complex_numIdEEEv20rocsparse_direction_iiiNS_24const_host_device_scalarIT2_EEPKiS8_PKS5_S6_S8_S8_SA_S8_PiPS5_21rocsparse_index_base_SD_SD_b,"axG",@progbits,_ZN9rocsparseL39bsrgeam_wf_per_row_multipass_2_3_kernelILj256ELj3ELj64E21rocsparse_complex_numIdEEEv20rocsparse_direction_iiiNS_24const_host_device_scalarIT2_EEPKiS8_PKS5_S6_S8_S8_SA_S8_PiPS5_21rocsparse_index_base_SD_SD_b,comdat
.Lfunc_end27:
	.size	_ZN9rocsparseL39bsrgeam_wf_per_row_multipass_2_3_kernelILj256ELj3ELj64E21rocsparse_complex_numIdEEEv20rocsparse_direction_iiiNS_24const_host_device_scalarIT2_EEPKiS8_PKS5_S6_S8_S8_SA_S8_PiPS5_21rocsparse_index_base_SD_SD_b, .Lfunc_end27-_ZN9rocsparseL39bsrgeam_wf_per_row_multipass_2_3_kernelILj256ELj3ELj64E21rocsparse_complex_numIdEEEv20rocsparse_direction_iiiNS_24const_host_device_scalarIT2_EEPKiS8_PKS5_S6_S8_S8_SA_S8_PiPS5_21rocsparse_index_base_SD_SD_b
                                        ; -- End function
	.section	.AMDGPU.csdata,"",@progbits
; Kernel info:
; codeLenInByte = 4488
; NumSgprs: 34
; NumVgprs: 116
; NumAgprs: 0
; TotalNumVgprs: 116
; ScratchSize: 0
; MemoryBound: 0
; FloatMode: 240
; IeeeMode: 1
; LDSByteSize: 41216 bytes/workgroup (compile time only)
; SGPRBlocks: 4
; VGPRBlocks: 14
; NumSGPRsForWavesPerEU: 34
; NumVGPRsForWavesPerEU: 116
; AccumOffset: 116
; Occupancy: 1
; WaveLimiterHint : 1
; COMPUTE_PGM_RSRC2:SCRATCH_EN: 0
; COMPUTE_PGM_RSRC2:USER_SGPR: 8
; COMPUTE_PGM_RSRC2:TRAP_HANDLER: 0
; COMPUTE_PGM_RSRC2:TGID_X_EN: 1
; COMPUTE_PGM_RSRC2:TGID_Y_EN: 0
; COMPUTE_PGM_RSRC2:TGID_Z_EN: 0
; COMPUTE_PGM_RSRC2:TIDIG_COMP_CNT: 2
; COMPUTE_PGM_RSRC3_GFX90A:ACCUM_OFFSET: 28
; COMPUTE_PGM_RSRC3_GFX90A:TG_SPLIT: 0
	.section	.text._ZN9rocsparseL35bsrgeam_wf_per_row_multipass_kernelILj64ELj4E21rocsparse_complex_numIdEEEv20rocsparse_direction_iiiNS_24const_host_device_scalarIT1_EEPKiS8_PKS5_S6_S8_S8_SA_S8_PiPS5_21rocsparse_index_base_SD_SD_b,"axG",@progbits,_ZN9rocsparseL35bsrgeam_wf_per_row_multipass_kernelILj64ELj4E21rocsparse_complex_numIdEEEv20rocsparse_direction_iiiNS_24const_host_device_scalarIT1_EEPKiS8_PKS5_S6_S8_S8_SA_S8_PiPS5_21rocsparse_index_base_SD_SD_b,comdat
	.globl	_ZN9rocsparseL35bsrgeam_wf_per_row_multipass_kernelILj64ELj4E21rocsparse_complex_numIdEEEv20rocsparse_direction_iiiNS_24const_host_device_scalarIT1_EEPKiS8_PKS5_S6_S8_S8_SA_S8_PiPS5_21rocsparse_index_base_SD_SD_b ; -- Begin function _ZN9rocsparseL35bsrgeam_wf_per_row_multipass_kernelILj64ELj4E21rocsparse_complex_numIdEEEv20rocsparse_direction_iiiNS_24const_host_device_scalarIT1_EEPKiS8_PKS5_S6_S8_S8_SA_S8_PiPS5_21rocsparse_index_base_SD_SD_b
	.p2align	8
	.type	_ZN9rocsparseL35bsrgeam_wf_per_row_multipass_kernelILj64ELj4E21rocsparse_complex_numIdEEEv20rocsparse_direction_iiiNS_24const_host_device_scalarIT1_EEPKiS8_PKS5_S6_S8_S8_SA_S8_PiPS5_21rocsparse_index_base_SD_SD_b,@function
_ZN9rocsparseL35bsrgeam_wf_per_row_multipass_kernelILj64ELj4E21rocsparse_complex_numIdEEEv20rocsparse_direction_iiiNS_24const_host_device_scalarIT1_EEPKiS8_PKS5_S6_S8_S8_SA_S8_PiPS5_21rocsparse_index_base_SD_SD_b: ; @_ZN9rocsparseL35bsrgeam_wf_per_row_multipass_kernelILj64ELj4E21rocsparse_complex_numIdEEEv20rocsparse_direction_iiiNS_24const_host_device_scalarIT1_EEPKiS8_PKS5_S6_S8_S8_SA_S8_PiPS5_21rocsparse_index_base_SD_SD_b
; %bb.0:
	s_add_u32 flat_scratch_lo, s8, s11
	s_addc_u32 flat_scratch_hi, s9, 0
	s_load_dwordx4 s[12:15], s[6:7], 0x78
	s_load_dwordx4 s[20:23], s[6:7], 0x10
	;; [unrolled: 1-line block ×3, first 2 shown]
	s_add_u32 s0, s0, s11
	s_load_dwordx2 s[24:25], s[4:5], 0x4
	s_addc_u32 s1, s1, 0
	s_waitcnt lgkmcnt(0)
	s_bitcmp1_b32 s15, 0
	s_cselect_b64 s[4:5], -1, 0
	s_mov_b64 s[8:9], src_shared_base
	s_and_b64 vcc, s[4:5], exec
	s_cselect_b32 s8, s9, s21
	s_lshr_b32 s9, s24, 16
	v_bfe_u32 v1, v0, 10, 10
	v_and_b32_e32 v2, 0x3ff, v0
	s_mul_i32 s9, s9, s25
	v_mul_u32_u24_e32 v1, s25, v1
	v_mad_u32_u24 v1, s9, v2, v1
	v_bfe_u32 v0, v0, 20, 10
	v_add_lshl_u32 v4, v1, v0, 3
	v_pk_mov_b32 v[0:1], s[20:21], s[20:21] op_sel:[0,1]
	ds_write_b64 v4, v[0:1] offset:1056
	v_mov_b32_e32 v0, s16
	v_mov_b32_e32 v3, s20
	v_add_u32_e32 v5, 0x420, v4
	buffer_store_dword v0, off, s[0:3], 0
	v_mov_b32_e32 v0, s17
	buffer_store_dword v0, off, s[0:3], 0 offset:4
	v_cndmask_b32_e64 v0, v3, v5, s[4:5]
	v_mov_b32_e32 v1, s8
	flat_load_dwordx2 v[4:5], v[0:1]
	s_xor_b64 s[8:9], s[4:5], -1
	v_pk_mov_b32 v[6:7], s[22:23], s[22:23] op_sel:[0,1]
	s_cbranch_vccnz .LBB28_2
; %bb.1:
	v_pk_mov_b32 v[0:1], s[20:21], s[20:21] op_sel:[0,1]
	flat_load_dwordx2 v[6:7], v[0:1] offset:8
.LBB28_2:
	s_mov_b64 s[20:21], src_private_base
	s_and_b64 s[22:23], s[4:5], exec
	s_cselect_b32 s11, s21, s17
	v_mov_b32_e32 v0, 0
	v_mov_b32_e32 v1, s16
	v_cndmask_b32_e64 v0, v1, v0, s[4:5]
	v_mov_b32_e32 v1, s11
	flat_load_dwordx2 v[8:9], v[0:1]
	s_load_dwordx2 s[20:21], s[6:7], 0x20
	s_andn2_b64 vcc, exec, s[8:9]
	v_pk_mov_b32 v[10:11], s[18:19], s[18:19] op_sel:[0,1]
	s_cbranch_vccnz .LBB28_4
; %bb.3:
	v_pk_mov_b32 v[0:1], s[16:17], s[16:17] op_sel:[0,1]
	flat_load_dwordx2 v[10:11], v[0:1] offset:8
.LBB28_4:
	s_load_dwordx4 s[16:19], s[6:7], 0x0
	v_lshrrev_b32_e32 v3, 4, v2
	v_lshl_or_b32 v0, s10, 2, v3
	v_mov_b32_e32 v19, 0
	v_ashrrev_i32_e32 v1, 31, v0
	s_waitcnt lgkmcnt(0)
	v_cmp_le_i32_e32 vcc, s17, v0
	v_cmp_gt_i32_e64 s[4:5], s17, v0
	v_mov_b32_e32 v12, 0
	s_and_saveexec_b64 s[10:11], s[4:5]
	s_cbranch_execz .LBB28_6
; %bb.5:
	v_lshlrev_b64 v[12:13], 2, v[0:1]
	v_mov_b32_e32 v14, s21
	v_add_co_u32_e64 v12, s[8:9], s20, v12
	v_addc_co_u32_e64 v13, s[8:9], v14, v13, s[8:9]
	global_load_dword v12, v[12:13], off
	s_waitcnt vmcnt(0)
	v_subrev_u32_e32 v12, s12, v12
.LBB28_6:
	s_or_b64 exec, exec, s[10:11]
	s_load_dwordx2 s[10:11], s[6:7], 0x48
	s_and_saveexec_b64 s[22:23], s[4:5]
	s_cbranch_execz .LBB28_8
; %bb.7:
	v_lshlrev_b64 v[14:15], 2, v[0:1]
	v_mov_b32_e32 v13, s21
	v_add_co_u32_e64 v14, s[8:9], s20, v14
	v_addc_co_u32_e64 v15, s[8:9], v13, v15, s[8:9]
	global_load_dword v13, v[14:15], off offset:4
	s_waitcnt vmcnt(0)
	v_subrev_u32_e32 v19, s12, v13
.LBB28_8:
	s_or_b64 exec, exec, s[22:23]
	v_mov_b32_e32 v21, 0
	v_mov_b32_e32 v14, 0
	s_and_saveexec_b64 s[20:21], s[4:5]
	s_cbranch_execz .LBB28_10
; %bb.9:
	v_lshlrev_b64 v[14:15], 2, v[0:1]
	s_waitcnt lgkmcnt(0)
	v_mov_b32_e32 v13, s11
	v_add_co_u32_e64 v14, s[8:9], s10, v14
	v_addc_co_u32_e64 v15, s[8:9], v13, v15, s[8:9]
	global_load_dword v13, v[14:15], off
	s_waitcnt vmcnt(0)
	v_subrev_u32_e32 v14, s13, v13
.LBB28_10:
	s_or_b64 exec, exec, s[20:21]
	s_and_saveexec_b64 s[20:21], s[4:5]
	s_cbranch_execz .LBB28_12
; %bb.11:
	v_lshlrev_b64 v[16:17], 2, v[0:1]
	s_waitcnt lgkmcnt(0)
	v_mov_b32_e32 v13, s11
	v_add_co_u32_e64 v16, s[8:9], s10, v16
	v_addc_co_u32_e64 v17, s[8:9], v13, v17, s[8:9]
	global_load_dword v13, v[16:17], off offset:4
	s_waitcnt vmcnt(0)
	v_subrev_u32_e32 v21, s13, v13
.LBB28_12:
	s_or_b64 exec, exec, s[20:21]
	s_load_dwordx2 s[24:25], s[6:7], 0x28
	v_mov_b32_e32 v16, 0
	s_and_saveexec_b64 s[8:9], s[4:5]
	s_cbranch_execz .LBB28_14
; %bb.13:
	s_load_dwordx2 s[4:5], s[6:7], 0x60
	v_lshlrev_b64 v[0:1], 2, v[0:1]
	s_waitcnt lgkmcnt(0)
	v_mov_b32_e32 v13, s5
	v_add_co_u32_e64 v0, s[4:5], s4, v0
	v_addc_co_u32_e64 v1, s[4:5], v13, v1, s[4:5]
	global_load_dword v0, v[0:1], off
	s_waitcnt vmcnt(0)
	v_subrev_u32_e32 v16, s14, v0
.LBB28_14:
	s_or_b64 exec, exec, s[8:9]
	s_load_dwordx2 s[26:27], s[6:7], 0x50
	v_cmp_lt_i32_e64 s[4:5], v12, v19
	v_mov_b32_e32 v1, s18
	s_and_saveexec_b64 s[8:9], s[4:5]
	s_cbranch_execz .LBB28_16
; %bb.15:
	v_ashrrev_i32_e32 v13, 31, v12
	v_lshlrev_b64 v[0:1], 2, v[12:13]
	s_waitcnt lgkmcnt(0)
	v_mov_b32_e32 v13, s25
	v_add_co_u32_e64 v0, s[4:5], s24, v0
	v_addc_co_u32_e64 v1, s[4:5], v13, v1, s[4:5]
	global_load_dword v0, v[0:1], off
	s_waitcnt vmcnt(0)
	v_subrev_u32_e32 v1, s12, v0
.LBB28_16:
	s_or_b64 exec, exec, s[8:9]
	v_cmp_lt_i32_e64 s[4:5], v14, v21
	v_mov_b32_e32 v13, s18
	s_and_saveexec_b64 s[8:9], s[4:5]
	s_cbranch_execz .LBB28_18
; %bb.17:
	v_ashrrev_i32_e32 v15, 31, v14
	v_lshlrev_b64 v[22:23], 2, v[14:15]
	s_waitcnt lgkmcnt(0)
	v_mov_b32_e32 v0, s27
	v_add_co_u32_e64 v22, s[4:5], s26, v22
	v_addc_co_u32_e64 v23, s[4:5], v0, v23, s[4:5]
	global_load_dword v0, v[22:23], off
	s_waitcnt vmcnt(0)
	v_subrev_u32_e32 v13, s13, v0
.LBB28_18:
	s_or_b64 exec, exec, s[8:9]
	v_cndmask_b32_e64 v0, 0, 1, vcc
	v_lshlrev_b32_e32 v15, 2, v3
	ds_write_b32 v15, v0 offset:1024
	v_mov_b32_e32 v0, 0
	s_waitcnt lgkmcnt(0)
	; wave barrier
	s_waitcnt lgkmcnt(0)
	ds_read_b32 v17, v0 offset:1024
	s_waitcnt lgkmcnt(0)
	v_cmp_lt_u32_e32 vcc, 3, v17
	s_cbranch_vccnz .LBB28_58
; %bb.19:
	v_and_b32_e32 v18, 3, v2
	v_bfe_u32 v20, v2, 2, 2
	v_min_i32_e32 v17, v13, v1
	v_mov_b32_e32 v1, 0x410
	v_lshl_or_b32 v25, v3, 2, v1
	v_max_i32_e32 v1, v20, v18
	s_load_dwordx4 s[20:23], s[6:7], 0x68
	s_load_dwordx2 s[28:29], s[6:7], 0x58
	s_load_dwordx2 s[30:31], s[6:7], 0x30
	v_cmp_gt_i32_e64 s[4:5], s19, v1
	v_and_b32_e32 v1, 48, v2
	v_lshlrev_b32_e32 v3, 2, v20
	v_or3_b32 v3, v3, v1, v18
	v_lshlrev_b32_e32 v33, 4, v3
	v_lshlrev_b32_e32 v3, 2, v18
	s_cmp_eq_u32 s16, 0
	v_or3_b32 v1, v3, v1, v20
	s_cselect_b64 vcc, -1, 0
	s_cmp_lg_u32 s16, 0
	v_lshlrev_b32_e32 v34, 4, v1
	v_mov_b32_e32 v1, 0x400
	v_or_b32_e32 v23, 0x400, v15
	v_lshlrev_b32_e32 v32, 4, v2
	s_cselect_b64 s[16:17], -1, 0
	v_cmp_gt_u32_e64 s[6:7], 2, v2
	v_lshl_or_b32 v35, v2, 2, v1
	v_cmp_eq_u32_e64 s[8:9], 0, v2
	v_cndmask_b32_e32 v22, v20, v18, vcc
	v_cndmask_b32_e32 v24, v18, v20, vcc
	;; [unrolled: 1-line block ×3, first 2 shown]
	s_mul_i32 s15, s19, s19
	v_mov_b32_e32 v1, v0
	v_mov_b32_e32 v2, v0
	;; [unrolled: 1-line block ×4, first 2 shown]
	s_branch .LBB28_21
.LBB28_20:                              ;   in Loop: Header=BB28_21 Depth=1
	s_or_b64 exec, exec, s[10:11]
	s_waitcnt lgkmcnt(0)
	; wave barrier
	s_waitcnt lgkmcnt(0)
	ds_read_b32 v15, v0 offset:1024
	v_add_u32_e32 v16, 1, v16
	v_mov_b32_e32 v17, v13
	s_waitcnt lgkmcnt(0)
	v_cmp_gt_u32_e32 vcc, 4, v15
	s_cbranch_vccz .LBB28_58
.LBB28_21:                              ; =>This Loop Header: Depth=1
                                        ;     Child Loop BB28_24 Depth 2
                                        ;     Child Loop BB28_39 Depth 2
	v_cmp_lt_i32_e32 vcc, v12, v19
	v_mov_b32_e32 v13, s18
	ds_write_b32 v25, v0
	ds_write_b128 v32, v[0:3]
	s_waitcnt lgkmcnt(0)
	; wave barrier
	s_waitcnt lgkmcnt(0)
	s_and_saveexec_b64 s[34:35], vcc
	s_cbranch_execz .LBB28_36
; %bb.22:                               ;   in Loop: Header=BB28_21 Depth=1
	v_mul_lo_u32 v13, s19, v12
	v_add_u32_e32 v15, v18, v13
	v_add_u32_e32 v13, v20, v13
	v_mad_u64_u32 v[28:29], s[10:11], s19, v13, v[18:19]
	v_ashrrev_i32_e32 v13, 31, v12
	v_lshlrev_b64 v[30:31], 2, v[12:13]
	v_mov_b32_e32 v13, s25
	v_add_co_u32_e32 v30, vcc, s24, v30
	v_mad_u64_u32 v[26:27], s[10:11], s19, v15, v[20:21]
	v_addc_co_u32_e32 v31, vcc, v13, v31, vcc
	s_mov_b32 s33, 0
	s_mov_b64 s[36:37], 0
	v_mov_b32_e32 v13, s18
	s_branch .LBB28_24
.LBB28_23:                              ;   in Loop: Header=BB28_24 Depth=2
	s_or_b64 exec, exec, s[40:41]
	s_and_b64 s[10:11], exec, s[38:39]
	v_mov_b32_e32 v27, v12
	s_or_b64 s[36:37], s[10:11], s[36:37]
	v_mov_b32_e32 v12, v15
	s_andn2_b64 exec, exec, s[36:37]
	s_cbranch_execz .LBB28_35
.LBB28_24:                              ;   Parent Loop BB28_21 Depth=1
                                        ; =>  This Inner Loop Header: Depth=2
	global_load_dword v15, v[30:31], off
	s_waitcnt vmcnt(0)
	v_subrev_u32_e32 v15, s12, v15
	v_cmp_le_i32_e64 s[10:11], v15, v17
	s_and_saveexec_b64 s[38:39], s[10:11]
	s_xor_b64 s[38:39], exec, s[38:39]
	s_cbranch_execz .LBB28_28
; %bb.25:                               ;   in Loop: Header=BB28_24 Depth=2
	ds_write_b32 v25, v37
	s_and_saveexec_b64 s[40:41], s[4:5]
	s_cbranch_execz .LBB28_34
; %bb.26:                               ;   in Loop: Header=BB28_24 Depth=2
	s_and_b64 vcc, exec, s[16:17]
	s_cbranch_vccz .LBB28_32
; %bb.27:                               ;   in Loop: Header=BB28_24 Depth=2
	v_add_u32_e32 v38, s33, v28
	v_ashrrev_i32_e32 v39, 31, v38
	v_lshlrev_b64 v[38:39], 4, v[38:39]
	v_mov_b32_e32 v15, s31
	v_add_co_u32_e32 v38, vcc, s30, v38
	v_addc_co_u32_e32 v39, vcc, v15, v39, vcc
	global_load_dwordx4 v[38:41], v[38:39], off
	s_waitcnt vmcnt(0)
	v_mul_f64 v[42:43], v[40:41], -v[6:7]
	v_mul_f64 v[44:45], v[4:5], v[40:41]
	v_fmac_f64_e32 v[42:43], v[4:5], v[38:39]
	v_fmac_f64_e32 v[44:45], v[6:7], v[38:39]
	ds_write_b128 v33, v[42:45]
	s_cbranch_execz .LBB28_33
	s_branch .LBB28_34
.LBB28_28:                              ;   in Loop: Header=BB28_24 Depth=2
	s_andn2_saveexec_b64 s[38:39], s[38:39]
.LBB28_29:                              ;   in Loop: Header=BB28_24 Depth=2
	v_min_i32_e32 v13, v15, v13
.LBB28_30:                              ;   in Loop: Header=BB28_24 Depth=2
	s_or_b64 exec, exec, s[38:39]
	s_mov_b64 s[38:39], -1
                                        ; implicit-def: $vgpr15
	s_and_saveexec_b64 s[40:41], s[10:11]
	s_cbranch_execz .LBB28_23
; %bb.31:                               ;   in Loop: Header=BB28_24 Depth=2
	v_add_co_u32_e32 v30, vcc, 4, v30
	v_add_u32_e32 v15, 1, v12
	v_addc_co_u32_e32 v31, vcc, 0, v31, vcc
	v_cmp_ge_i32_e32 vcc, v15, v19
	s_add_i32 s33, s33, s15
	s_orn2_b64 s[38:39], vcc, exec
	v_mov_b32_e32 v12, v19
	s_branch .LBB28_23
.LBB28_32:                              ;   in Loop: Header=BB28_24 Depth=2
.LBB28_33:                              ;   in Loop: Header=BB28_24 Depth=2
	v_add_u32_e32 v38, s33, v26
	v_ashrrev_i32_e32 v39, 31, v38
	v_lshlrev_b64 v[38:39], 4, v[38:39]
	v_mov_b32_e32 v15, s31
	v_add_co_u32_e32 v38, vcc, s30, v38
	v_addc_co_u32_e32 v39, vcc, v15, v39, vcc
	global_load_dwordx4 v[38:41], v[38:39], off
	s_waitcnt vmcnt(0)
	v_mul_f64 v[42:43], v[40:41], -v[6:7]
	v_mul_f64 v[44:45], v[4:5], v[40:41]
	v_fmac_f64_e32 v[42:43], v[4:5], v[38:39]
	v_fmac_f64_e32 v[44:45], v[6:7], v[38:39]
	ds_write_b128 v34, v[42:45]
.LBB28_34:                              ;   in Loop: Header=BB28_24 Depth=2
	s_or_b64 exec, exec, s[40:41]
                                        ; implicit-def: $vgpr15
	s_andn2_saveexec_b64 s[38:39], s[38:39]
	s_cbranch_execz .LBB28_30
	s_branch .LBB28_29
.LBB28_35:                              ;   in Loop: Header=BB28_21 Depth=1
	s_or_b64 exec, exec, s[36:37]
	v_mov_b32_e32 v12, v27
.LBB28_36:                              ;   in Loop: Header=BB28_21 Depth=1
	s_or_b64 exec, exec, s[34:35]
	v_cmp_lt_i32_e32 vcc, v14, v21
	s_waitcnt lgkmcnt(0)
	; wave barrier
	s_waitcnt lgkmcnt(0)
	s_and_saveexec_b64 s[34:35], vcc
	s_cbranch_execz .LBB28_51
; %bb.37:                               ;   in Loop: Header=BB28_21 Depth=1
	v_mul_lo_u32 v15, s19, v14
	v_add_u32_e32 v26, v18, v15
	v_add_u32_e32 v15, v20, v15
	v_mad_u64_u32 v[28:29], s[10:11], s19, v15, v[18:19]
	v_ashrrev_i32_e32 v15, 31, v14
	v_lshlrev_b64 v[30:31], 2, v[14:15]
	v_mov_b32_e32 v15, s27
	v_add_co_u32_e32 v30, vcc, s26, v30
	v_mad_u64_u32 v[26:27], s[10:11], s19, v26, v[20:21]
	v_addc_co_u32_e32 v31, vcc, v15, v31, vcc
	s_mov_b32 s33, 0
	s_mov_b64 s[36:37], 0
	s_branch .LBB28_39
.LBB28_38:                              ;   in Loop: Header=BB28_39 Depth=2
	s_or_b64 exec, exec, s[40:41]
	s_and_b64 s[10:11], exec, s[38:39]
	v_mov_b32_e32 v27, v14
	s_or_b64 s[36:37], s[10:11], s[36:37]
	v_mov_b32_e32 v14, v15
	s_andn2_b64 exec, exec, s[36:37]
	s_cbranch_execz .LBB28_50
.LBB28_39:                              ;   Parent Loop BB28_21 Depth=1
                                        ; =>  This Inner Loop Header: Depth=2
	global_load_dword v15, v[30:31], off
	s_waitcnt vmcnt(0)
	v_subrev_u32_e32 v15, s13, v15
	v_cmp_le_i32_e64 s[10:11], v15, v17
	s_and_saveexec_b64 s[38:39], s[10:11]
	s_xor_b64 s[38:39], exec, s[38:39]
	s_cbranch_execz .LBB28_43
; %bb.40:                               ;   in Loop: Header=BB28_39 Depth=2
	ds_write_b32 v25, v37
	s_and_saveexec_b64 s[40:41], s[4:5]
	s_cbranch_execz .LBB28_49
; %bb.41:                               ;   in Loop: Header=BB28_39 Depth=2
	s_and_b64 vcc, exec, s[16:17]
	s_cbranch_vccz .LBB28_47
; %bb.42:                               ;   in Loop: Header=BB28_39 Depth=2
	v_add_u32_e32 v38, s33, v28
	v_ashrrev_i32_e32 v39, 31, v38
	v_lshlrev_b64 v[38:39], 4, v[38:39]
	v_mov_b32_e32 v15, s29
	v_add_co_u32_e32 v38, vcc, s28, v38
	v_addc_co_u32_e32 v39, vcc, v15, v39, vcc
	global_load_dwordx4 v[38:41], v[38:39], off
	ds_read_b128 v[42:45], v33
	s_waitcnt vmcnt(0) lgkmcnt(0)
	v_fmac_f64_e32 v[42:43], v[8:9], v[38:39]
	v_fmac_f64_e32 v[44:45], v[10:11], v[38:39]
	v_fma_f64 v[42:43], -v[10:11], v[40:41], v[42:43]
	v_fmac_f64_e32 v[44:45], v[8:9], v[40:41]
	ds_write_b128 v33, v[42:45]
	s_cbranch_execz .LBB28_48
	s_branch .LBB28_49
.LBB28_43:                              ;   in Loop: Header=BB28_39 Depth=2
	s_andn2_saveexec_b64 s[38:39], s[38:39]
.LBB28_44:                              ;   in Loop: Header=BB28_39 Depth=2
	v_min_i32_e32 v13, v15, v13
.LBB28_45:                              ;   in Loop: Header=BB28_39 Depth=2
	s_or_b64 exec, exec, s[38:39]
	s_mov_b64 s[38:39], -1
                                        ; implicit-def: $vgpr15
	s_and_saveexec_b64 s[40:41], s[10:11]
	s_cbranch_execz .LBB28_38
; %bb.46:                               ;   in Loop: Header=BB28_39 Depth=2
	v_add_co_u32_e32 v30, vcc, 4, v30
	v_add_u32_e32 v15, 1, v14
	v_addc_co_u32_e32 v31, vcc, 0, v31, vcc
	v_cmp_ge_i32_e32 vcc, v15, v21
	s_add_i32 s33, s33, s15
	s_orn2_b64 s[38:39], vcc, exec
	v_mov_b32_e32 v14, v21
	s_branch .LBB28_38
.LBB28_47:                              ;   in Loop: Header=BB28_39 Depth=2
.LBB28_48:                              ;   in Loop: Header=BB28_39 Depth=2
	v_add_u32_e32 v38, s33, v26
	v_ashrrev_i32_e32 v39, 31, v38
	v_lshlrev_b64 v[38:39], 4, v[38:39]
	v_mov_b32_e32 v15, s29
	v_add_co_u32_e32 v38, vcc, s28, v38
	v_addc_co_u32_e32 v39, vcc, v15, v39, vcc
	global_load_dwordx4 v[38:41], v[38:39], off
	ds_read_b128 v[42:45], v34
	s_waitcnt vmcnt(0) lgkmcnt(0)
	v_fmac_f64_e32 v[42:43], v[8:9], v[38:39]
	v_fmac_f64_e32 v[44:45], v[10:11], v[38:39]
	v_fma_f64 v[42:43], -v[10:11], v[40:41], v[42:43]
	v_fmac_f64_e32 v[44:45], v[8:9], v[40:41]
	ds_write_b128 v34, v[42:45]
.LBB28_49:                              ;   in Loop: Header=BB28_39 Depth=2
	s_or_b64 exec, exec, s[40:41]
                                        ; implicit-def: $vgpr15
	s_andn2_saveexec_b64 s[38:39], s[38:39]
	s_cbranch_execz .LBB28_45
	s_branch .LBB28_44
.LBB28_50:                              ;   in Loop: Header=BB28_21 Depth=1
	s_or_b64 exec, exec, s[36:37]
	v_mov_b32_e32 v14, v27
.LBB28_51:                              ;   in Loop: Header=BB28_21 Depth=1
	s_or_b64 exec, exec, s[34:35]
	s_waitcnt lgkmcnt(0)
	; wave barrier
	s_waitcnt lgkmcnt(0)
	ds_read_b32 v15, v25
	s_waitcnt lgkmcnt(0)
	v_cmp_ne_u32_e32 vcc, 0, v15
	s_and_saveexec_b64 s[10:11], vcc
	s_cbranch_execz .LBB28_54
; %bb.52:                               ;   in Loop: Header=BB28_21 Depth=1
	v_add_u32_e32 v15, s14, v17
	v_ashrrev_i32_e32 v17, 31, v16
	v_lshlrev_b64 v[26:27], 2, v[16:17]
	v_mov_b32_e32 v17, s21
	v_add_co_u32_e32 v26, vcc, s20, v26
	v_addc_co_u32_e32 v27, vcc, v17, v27, vcc
	global_store_dword v[26:27], v15, off
	s_and_b64 exec, exec, s[4:5]
	s_cbranch_execz .LBB28_54
; %bb.53:                               ;   in Loop: Header=BB28_21 Depth=1
	v_mad_u64_u32 v[26:27], s[34:35], v16, s19, v[22:23]
	v_mad_u64_u32 v[26:27], s[34:35], v26, s19, v[24:25]
	v_ashrrev_i32_e32 v27, 31, v26
	v_lshlrev_b64 v[30:31], 4, v[26:27]
	ds_read2_b64 v[26:29], v36 offset1:1
	v_mov_b32_e32 v15, s23
	v_add_co_u32_e32 v30, vcc, s22, v30
	v_addc_co_u32_e32 v31, vcc, v15, v31, vcc
	s_waitcnt lgkmcnt(0)
	global_store_dwordx4 v[30:31], v[26:29], off
.LBB28_54:                              ;   in Loop: Header=BB28_21 Depth=1
	s_or_b64 exec, exec, s[10:11]
	v_cmp_le_i32_e32 vcc, s18, v13
	v_cndmask_b32_e64 v15, 0, 1, vcc
	s_waitcnt lgkmcnt(0)
	; wave barrier
	s_waitcnt lgkmcnt(0)
	s_waitcnt lgkmcnt(0)
	; wave barrier
	ds_write_b32 v23, v15
	s_waitcnt lgkmcnt(0)
	; wave barrier
	s_waitcnt lgkmcnt(0)
	s_and_saveexec_b64 s[10:11], s[6:7]
	s_cbranch_execz .LBB28_56
; %bb.55:                               ;   in Loop: Header=BB28_21 Depth=1
	ds_read2_b32 v[26:27], v35 offset1:2
	s_waitcnt lgkmcnt(0)
	v_add_u32_e32 v15, v27, v26
	ds_write_b32 v35, v15
.LBB28_56:                              ;   in Loop: Header=BB28_21 Depth=1
	s_or_b64 exec, exec, s[10:11]
	s_waitcnt lgkmcnt(0)
	; wave barrier
	s_waitcnt lgkmcnt(0)
	s_and_saveexec_b64 s[10:11], s[8:9]
	s_cbranch_execz .LBB28_20
; %bb.57:                               ;   in Loop: Header=BB28_21 Depth=1
	ds_read_b64 v[26:27], v0 offset:1024
	s_waitcnt lgkmcnt(0)
	v_add_u32_e32 v15, v27, v26
	ds_write_b32 v0, v15 offset:1024
	s_branch .LBB28_20
.LBB28_58:
	s_endpgm
	.section	.rodata,"a",@progbits
	.p2align	6, 0x0
	.amdhsa_kernel _ZN9rocsparseL35bsrgeam_wf_per_row_multipass_kernelILj64ELj4E21rocsparse_complex_numIdEEEv20rocsparse_direction_iiiNS_24const_host_device_scalarIT1_EEPKiS8_PKS5_S6_S8_S8_SA_S8_PiPS5_21rocsparse_index_base_SD_SD_b
		.amdhsa_group_segment_fixed_size 1568
		.amdhsa_private_segment_fixed_size 16
		.amdhsa_kernarg_size 136
		.amdhsa_user_sgpr_count 10
		.amdhsa_user_sgpr_private_segment_buffer 1
		.amdhsa_user_sgpr_dispatch_ptr 1
		.amdhsa_user_sgpr_queue_ptr 0
		.amdhsa_user_sgpr_kernarg_segment_ptr 1
		.amdhsa_user_sgpr_dispatch_id 0
		.amdhsa_user_sgpr_flat_scratch_init 1
		.amdhsa_user_sgpr_kernarg_preload_length 0
		.amdhsa_user_sgpr_kernarg_preload_offset 0
		.amdhsa_user_sgpr_private_segment_size 0
		.amdhsa_uses_dynamic_stack 0
		.amdhsa_system_sgpr_private_segment_wavefront_offset 1
		.amdhsa_system_sgpr_workgroup_id_x 1
		.amdhsa_system_sgpr_workgroup_id_y 0
		.amdhsa_system_sgpr_workgroup_id_z 0
		.amdhsa_system_sgpr_workgroup_info 0
		.amdhsa_system_vgpr_workitem_id 2
		.amdhsa_next_free_vgpr 46
		.amdhsa_next_free_sgpr 42
		.amdhsa_accum_offset 48
		.amdhsa_reserve_vcc 1
		.amdhsa_reserve_flat_scratch 1
		.amdhsa_float_round_mode_32 0
		.amdhsa_float_round_mode_16_64 0
		.amdhsa_float_denorm_mode_32 3
		.amdhsa_float_denorm_mode_16_64 3
		.amdhsa_dx10_clamp 1
		.amdhsa_ieee_mode 1
		.amdhsa_fp16_overflow 0
		.amdhsa_tg_split 0
		.amdhsa_exception_fp_ieee_invalid_op 0
		.amdhsa_exception_fp_denorm_src 0
		.amdhsa_exception_fp_ieee_div_zero 0
		.amdhsa_exception_fp_ieee_overflow 0
		.amdhsa_exception_fp_ieee_underflow 0
		.amdhsa_exception_fp_ieee_inexact 0
		.amdhsa_exception_int_div_zero 0
	.end_amdhsa_kernel
	.section	.text._ZN9rocsparseL35bsrgeam_wf_per_row_multipass_kernelILj64ELj4E21rocsparse_complex_numIdEEEv20rocsparse_direction_iiiNS_24const_host_device_scalarIT1_EEPKiS8_PKS5_S6_S8_S8_SA_S8_PiPS5_21rocsparse_index_base_SD_SD_b,"axG",@progbits,_ZN9rocsparseL35bsrgeam_wf_per_row_multipass_kernelILj64ELj4E21rocsparse_complex_numIdEEEv20rocsparse_direction_iiiNS_24const_host_device_scalarIT1_EEPKiS8_PKS5_S6_S8_S8_SA_S8_PiPS5_21rocsparse_index_base_SD_SD_b,comdat
.Lfunc_end28:
	.size	_ZN9rocsparseL35bsrgeam_wf_per_row_multipass_kernelILj64ELj4E21rocsparse_complex_numIdEEEv20rocsparse_direction_iiiNS_24const_host_device_scalarIT1_EEPKiS8_PKS5_S6_S8_S8_SA_S8_PiPS5_21rocsparse_index_base_SD_SD_b, .Lfunc_end28-_ZN9rocsparseL35bsrgeam_wf_per_row_multipass_kernelILj64ELj4E21rocsparse_complex_numIdEEEv20rocsparse_direction_iiiNS_24const_host_device_scalarIT1_EEPKiS8_PKS5_S6_S8_S8_SA_S8_PiPS5_21rocsparse_index_base_SD_SD_b
                                        ; -- End function
	.section	.AMDGPU.csdata,"",@progbits
; Kernel info:
; codeLenInByte = 2256
; NumSgprs: 48
; NumVgprs: 46
; NumAgprs: 0
; TotalNumVgprs: 46
; ScratchSize: 16
; MemoryBound: 0
; FloatMode: 240
; IeeeMode: 1
; LDSByteSize: 1568 bytes/workgroup (compile time only)
; SGPRBlocks: 5
; VGPRBlocks: 5
; NumSGPRsForWavesPerEU: 48
; NumVGPRsForWavesPerEU: 46
; AccumOffset: 48
; Occupancy: 8
; WaveLimiterHint : 0
; COMPUTE_PGM_RSRC2:SCRATCH_EN: 1
; COMPUTE_PGM_RSRC2:USER_SGPR: 10
; COMPUTE_PGM_RSRC2:TRAP_HANDLER: 0
; COMPUTE_PGM_RSRC2:TGID_X_EN: 1
; COMPUTE_PGM_RSRC2:TGID_Y_EN: 0
; COMPUTE_PGM_RSRC2:TGID_Z_EN: 0
; COMPUTE_PGM_RSRC2:TIDIG_COMP_CNT: 2
; COMPUTE_PGM_RSRC3_GFX90A:ACCUM_OFFSET: 11
; COMPUTE_PGM_RSRC3_GFX90A:TG_SPLIT: 0
	.section	.text._ZN9rocsparseL35bsrgeam_wf_per_row_multipass_kernelILj64ELj8E21rocsparse_complex_numIdEEEv20rocsparse_direction_iiiNS_24const_host_device_scalarIT1_EEPKiS8_PKS5_S6_S8_S8_SA_S8_PiPS5_21rocsparse_index_base_SD_SD_b,"axG",@progbits,_ZN9rocsparseL35bsrgeam_wf_per_row_multipass_kernelILj64ELj8E21rocsparse_complex_numIdEEEv20rocsparse_direction_iiiNS_24const_host_device_scalarIT1_EEPKiS8_PKS5_S6_S8_S8_SA_S8_PiPS5_21rocsparse_index_base_SD_SD_b,comdat
	.globl	_ZN9rocsparseL35bsrgeam_wf_per_row_multipass_kernelILj64ELj8E21rocsparse_complex_numIdEEEv20rocsparse_direction_iiiNS_24const_host_device_scalarIT1_EEPKiS8_PKS5_S6_S8_S8_SA_S8_PiPS5_21rocsparse_index_base_SD_SD_b ; -- Begin function _ZN9rocsparseL35bsrgeam_wf_per_row_multipass_kernelILj64ELj8E21rocsparse_complex_numIdEEEv20rocsparse_direction_iiiNS_24const_host_device_scalarIT1_EEPKiS8_PKS5_S6_S8_S8_SA_S8_PiPS5_21rocsparse_index_base_SD_SD_b
	.p2align	8
	.type	_ZN9rocsparseL35bsrgeam_wf_per_row_multipass_kernelILj64ELj8E21rocsparse_complex_numIdEEEv20rocsparse_direction_iiiNS_24const_host_device_scalarIT1_EEPKiS8_PKS5_S6_S8_S8_SA_S8_PiPS5_21rocsparse_index_base_SD_SD_b,@function
_ZN9rocsparseL35bsrgeam_wf_per_row_multipass_kernelILj64ELj8E21rocsparse_complex_numIdEEEv20rocsparse_direction_iiiNS_24const_host_device_scalarIT1_EEPKiS8_PKS5_S6_S8_S8_SA_S8_PiPS5_21rocsparse_index_base_SD_SD_b: ; @_ZN9rocsparseL35bsrgeam_wf_per_row_multipass_kernelILj64ELj8E21rocsparse_complex_numIdEEEv20rocsparse_direction_iiiNS_24const_host_device_scalarIT1_EEPKiS8_PKS5_S6_S8_S8_SA_S8_PiPS5_21rocsparse_index_base_SD_SD_b
; %bb.0:
	s_add_u32 flat_scratch_lo, s8, s11
	s_addc_u32 flat_scratch_hi, s9, 0
	s_load_dwordx4 s[12:15], s[6:7], 0x78
	s_load_dwordx4 s[20:23], s[6:7], 0x10
	;; [unrolled: 1-line block ×3, first 2 shown]
	s_add_u32 s0, s0, s11
	s_load_dwordx2 s[24:25], s[4:5], 0x4
	s_addc_u32 s1, s1, 0
	s_waitcnt lgkmcnt(0)
	s_bitcmp1_b32 s15, 0
	s_cselect_b64 s[4:5], -1, 0
	s_mov_b64 s[8:9], src_shared_base
	s_and_b64 vcc, s[4:5], exec
	s_cselect_b32 s8, s9, s21
	s_lshr_b32 s9, s24, 16
	v_bfe_u32 v1, v0, 10, 10
	v_and_b32_e32 v2, 0x3ff, v0
	s_mul_i32 s9, s9, s25
	v_mul_u32_u24_e32 v1, s25, v1
	v_mad_u32_u24 v1, s9, v2, v1
	v_bfe_u32 v0, v0, 20, 10
	v_add_lshl_u32 v4, v1, v0, 3
	v_pk_mov_b32 v[0:1], s[20:21], s[20:21] op_sel:[0,1]
	ds_write_b64 v4, v[0:1] offset:1032
	v_mov_b32_e32 v0, s16
	v_mov_b32_e32 v3, s20
	v_add_u32_e32 v5, 0x408, v4
	buffer_store_dword v0, off, s[0:3], 0
	v_mov_b32_e32 v0, s17
	buffer_store_dword v0, off, s[0:3], 0 offset:4
	v_cndmask_b32_e64 v0, v3, v5, s[4:5]
	v_mov_b32_e32 v1, s8
	flat_load_dwordx2 v[4:5], v[0:1]
	s_xor_b64 s[8:9], s[4:5], -1
	v_pk_mov_b32 v[6:7], s[22:23], s[22:23] op_sel:[0,1]
	s_cbranch_vccnz .LBB29_2
; %bb.1:
	v_pk_mov_b32 v[0:1], s[20:21], s[20:21] op_sel:[0,1]
	flat_load_dwordx2 v[6:7], v[0:1] offset:8
.LBB29_2:
	s_mov_b64 s[20:21], src_private_base
	s_and_b64 s[22:23], s[4:5], exec
	s_cselect_b32 s11, s21, s17
	v_mov_b32_e32 v0, 0
	v_mov_b32_e32 v1, s16
	v_cndmask_b32_e64 v0, v1, v0, s[4:5]
	v_mov_b32_e32 v1, s11
	flat_load_dwordx2 v[8:9], v[0:1]
	s_load_dwordx2 s[20:21], s[6:7], 0x20
	s_andn2_b64 vcc, exec, s[8:9]
	v_pk_mov_b32 v[10:11], s[18:19], s[18:19] op_sel:[0,1]
	s_cbranch_vccnz .LBB29_4
; %bb.3:
	v_pk_mov_b32 v[0:1], s[16:17], s[16:17] op_sel:[0,1]
	flat_load_dwordx2 v[10:11], v[0:1] offset:8
.LBB29_4:
	s_load_dwordx4 s[16:19], s[6:7], 0x0
	v_mov_b32_e32 v0, s10
	v_mov_b32_e32 v19, 0
	;; [unrolled: 1-line block ×3, first 2 shown]
	s_waitcnt lgkmcnt(0)
	s_cmp_ge_i32 s10, s17
	s_cselect_b64 s[4:5], -1, 0
	s_cmp_lt_i32 s10, s17
	s_cselect_b64 s[8:9], -1, 0
	s_and_saveexec_b64 s[22:23], s[8:9]
	s_cbranch_execz .LBB29_6
; %bb.5:
	v_ashrrev_i32_e64 v1, 31, s10
	v_lshlrev_b64 v[12:13], 2, v[0:1]
	v_mov_b32_e32 v1, s21
	v_add_co_u32_e32 v12, vcc, s20, v12
	v_addc_co_u32_e32 v13, vcc, v1, v13, vcc
	global_load_dword v1, v[12:13], off
	s_waitcnt vmcnt(0)
	v_subrev_u32_e32 v12, s12, v1
.LBB29_6:
	s_or_b64 exec, exec, s[22:23]
	s_load_dwordx2 s[22:23], s[6:7], 0x48
	s_and_saveexec_b64 s[24:25], s[8:9]
	s_cbranch_execz .LBB29_8
; %bb.7:
	v_ashrrev_i32_e64 v1, 31, s10
	v_lshlrev_b64 v[14:15], 2, v[0:1]
	v_mov_b32_e32 v1, s21
	v_add_co_u32_e32 v14, vcc, s20, v14
	v_addc_co_u32_e32 v15, vcc, v1, v15, vcc
	global_load_dword v1, v[14:15], off offset:4
	s_waitcnt vmcnt(0)
	v_subrev_u32_e32 v19, s12, v1
.LBB29_8:
	s_or_b64 exec, exec, s[24:25]
	v_mov_b32_e32 v21, 0
	v_mov_b32_e32 v14, 0
	s_and_saveexec_b64 s[20:21], s[8:9]
	s_cbranch_execz .LBB29_10
; %bb.9:
	v_ashrrev_i32_e64 v1, 31, s10
	v_lshlrev_b64 v[14:15], 2, v[0:1]
	s_waitcnt lgkmcnt(0)
	v_mov_b32_e32 v1, s23
	v_add_co_u32_e32 v14, vcc, s22, v14
	v_addc_co_u32_e32 v15, vcc, v1, v15, vcc
	global_load_dword v1, v[14:15], off
	s_waitcnt vmcnt(0)
	v_subrev_u32_e32 v14, s13, v1
.LBB29_10:
	s_or_b64 exec, exec, s[20:21]
	s_and_saveexec_b64 s[20:21], s[8:9]
	s_cbranch_execz .LBB29_12
; %bb.11:
	v_ashrrev_i32_e64 v1, 31, s10
	v_lshlrev_b64 v[16:17], 2, v[0:1]
	s_waitcnt lgkmcnt(0)
	v_mov_b32_e32 v1, s23
	v_add_co_u32_e32 v16, vcc, s22, v16
	v_addc_co_u32_e32 v17, vcc, v1, v17, vcc
	global_load_dword v1, v[16:17], off offset:4
	s_waitcnt vmcnt(0)
	v_subrev_u32_e32 v21, s13, v1
.LBB29_12:
	s_or_b64 exec, exec, s[20:21]
	s_load_dwordx2 s[20:21], s[6:7], 0x28
	v_mov_b32_e32 v16, 0
	s_waitcnt lgkmcnt(0)
	s_and_saveexec_b64 s[22:23], s[8:9]
	s_cbranch_execz .LBB29_14
; %bb.13:
	s_load_dwordx2 s[8:9], s[6:7], 0x60
	v_ashrrev_i32_e64 v1, 31, s10
	v_lshlrev_b64 v[0:1], 2, v[0:1]
	s_waitcnt lgkmcnt(0)
	v_mov_b32_e32 v3, s9
	v_add_co_u32_e32 v0, vcc, s8, v0
	v_addc_co_u32_e32 v1, vcc, v3, v1, vcc
	global_load_dword v0, v[0:1], off
	s_waitcnt vmcnt(0)
	v_subrev_u32_e32 v16, s14, v0
.LBB29_14:
	s_or_b64 exec, exec, s[22:23]
	s_load_dwordx2 s[22:23], s[6:7], 0x50
	v_cmp_lt_i32_e32 vcc, v12, v19
	v_mov_b32_e32 v1, s18
	s_and_saveexec_b64 s[8:9], vcc
	s_cbranch_execz .LBB29_16
; %bb.15:
	v_ashrrev_i32_e32 v13, 31, v12
	v_lshlrev_b64 v[0:1], 2, v[12:13]
	v_mov_b32_e32 v3, s21
	v_add_co_u32_e32 v0, vcc, s20, v0
	v_addc_co_u32_e32 v1, vcc, v3, v1, vcc
	global_load_dword v0, v[0:1], off
	s_waitcnt vmcnt(0)
	v_subrev_u32_e32 v1, s12, v0
.LBB29_16:
	s_or_b64 exec, exec, s[8:9]
	v_cmp_lt_i32_e32 vcc, v14, v21
	v_mov_b32_e32 v3, s18
	s_and_saveexec_b64 s[8:9], vcc
	s_cbranch_execz .LBB29_18
; %bb.17:
	v_ashrrev_i32_e32 v15, 31, v14
	v_lshlrev_b64 v[22:23], 2, v[14:15]
	s_waitcnt lgkmcnt(0)
	v_mov_b32_e32 v0, s23
	v_add_co_u32_e32 v22, vcc, s22, v22
	v_addc_co_u32_e32 v23, vcc, v0, v23, vcc
	global_load_dword v0, v[22:23], off
	s_waitcnt vmcnt(0)
	v_subrev_u32_e32 v3, s13, v0
.LBB29_18:
	s_or_b64 exec, exec, s[8:9]
	v_cndmask_b32_e64 v13, 0, 1, s[4:5]
	v_mov_b32_e32 v0, 0
	ds_write_b32 v0, v13 offset:1024
	s_waitcnt lgkmcnt(0)
	; wave barrier
	s_waitcnt lgkmcnt(0)
	ds_read_b32 v13, v0 offset:1024
	s_waitcnt lgkmcnt(0)
	v_cmp_ne_u32_e32 vcc, 0, v13
	s_cbranch_vccz .LBB29_20
.LBB29_19:
	s_endpgm
.LBB29_20:
	s_load_dwordx4 s[8:11], s[6:7], 0x68
	s_load_dwordx2 s[24:25], s[6:7], 0x58
	s_load_dwordx2 s[26:27], s[6:7], 0x30
	v_and_b32_e32 v18, 7, v2
	v_lshrrev_b32_e32 v20, 3, v2
	v_min_i32_e32 v13, v3, v1
	v_max_i32_e32 v1, v20, v18
	v_cmp_gt_i32_e64 s[4:5], s19, v1
	v_lshlrev_b32_e32 v1, 4, v18
	s_cmp_eq_u32 s16, 0
	v_lshl_or_b32 v33, v20, 7, v1
	v_lshlrev_b32_e32 v1, 4, v20
	s_cselect_b64 vcc, -1, 0
	s_cmp_lg_u32 s16, 0
	v_lshl_or_b32 v34, v18, 7, v1
	v_mov_b32_e32 v23, 0x400
	v_mov_b32_e32 v25, 0x404
	v_lshlrev_b32_e32 v32, 4, v2
	s_cselect_b64 s[16:17], -1, 0
	v_cndmask_b32_e32 v22, v20, v18, vcc
	v_cndmask_b32_e32 v24, v18, v20, vcc
	v_cndmask_b32_e32 v35, v33, v34, vcc
	s_mul_i32 s15, s19, s19
	v_mov_b32_e32 v1, v0
	v_mov_b32_e32 v2, v0
	;; [unrolled: 1-line block ×4, first 2 shown]
	s_branch .LBB29_22
.LBB29_21:                              ;   in Loop: Header=BB29_22 Depth=1
	s_or_b64 exec, exec, s[6:7]
	v_cmp_le_i32_e32 vcc, s18, v13
	v_cndmask_b32_e64 v15, 0, 1, vcc
	s_waitcnt lgkmcnt(0)
	; wave barrier
	s_waitcnt lgkmcnt(0)
	s_waitcnt lgkmcnt(0)
	; wave barrier
	ds_write_b32 v23, v15
	s_waitcnt lgkmcnt(0)
	; wave barrier
	s_waitcnt lgkmcnt(0)
	ds_read_b32 v15, v0 offset:1024
	v_add_u32_e32 v16, 1, v16
	s_waitcnt lgkmcnt(0)
	v_cmp_eq_u32_e32 vcc, 0, v15
	s_cbranch_vccz .LBB29_19
.LBB29_22:                              ; =>This Loop Header: Depth=1
                                        ;     Child Loop BB29_25 Depth 2
                                        ;     Child Loop BB29_40 Depth 2
	v_mov_b32_e32 v17, v13
	v_cmp_lt_i32_e32 vcc, v12, v19
	v_mov_b32_e32 v13, s18
	ds_write_b32 v25, v0
	ds_write_b128 v32, v[0:3]
	s_waitcnt lgkmcnt(0)
	; wave barrier
	s_waitcnt lgkmcnt(0)
	s_and_saveexec_b64 s[28:29], vcc
	s_cbranch_execz .LBB29_37
; %bb.23:                               ;   in Loop: Header=BB29_22 Depth=1
	v_mul_lo_u32 v13, s19, v12
	v_add_u32_e32 v15, v18, v13
	v_add_u32_e32 v13, v20, v13
	v_mad_u64_u32 v[28:29], s[6:7], s19, v13, v[18:19]
	v_ashrrev_i32_e32 v13, 31, v12
	v_lshlrev_b64 v[30:31], 2, v[12:13]
	v_mov_b32_e32 v13, s21
	v_add_co_u32_e32 v30, vcc, s20, v30
	v_mad_u64_u32 v[26:27], s[6:7], s19, v15, v[20:21]
	v_addc_co_u32_e32 v31, vcc, v13, v31, vcc
	s_mov_b32 s33, 0
	s_mov_b64 s[30:31], 0
	v_mov_b32_e32 v13, s18
	s_branch .LBB29_25
.LBB29_24:                              ;   in Loop: Header=BB29_25 Depth=2
	s_or_b64 exec, exec, s[36:37]
	s_and_b64 s[6:7], exec, s[34:35]
	v_mov_b32_e32 v27, v12
	s_or_b64 s[30:31], s[6:7], s[30:31]
	v_mov_b32_e32 v12, v15
	s_andn2_b64 exec, exec, s[30:31]
	s_cbranch_execz .LBB29_36
.LBB29_25:                              ;   Parent Loop BB29_22 Depth=1
                                        ; =>  This Inner Loop Header: Depth=2
	global_load_dword v15, v[30:31], off
	s_waitcnt vmcnt(0)
	v_subrev_u32_e32 v15, s12, v15
	v_cmp_le_i32_e64 s[6:7], v15, v17
	s_and_saveexec_b64 s[34:35], s[6:7]
	s_xor_b64 s[34:35], exec, s[34:35]
	s_cbranch_execz .LBB29_31
; %bb.26:                               ;   in Loop: Header=BB29_25 Depth=2
	ds_write_b32 v25, v36
	s_and_saveexec_b64 s[36:37], s[4:5]
	s_cbranch_execz .LBB29_30
; %bb.27:                               ;   in Loop: Header=BB29_25 Depth=2
	s_and_b64 vcc, exec, s[16:17]
	s_cbranch_vccz .LBB29_35
; %bb.28:                               ;   in Loop: Header=BB29_25 Depth=2
	v_add_u32_e32 v38, s33, v28
	v_ashrrev_i32_e32 v39, 31, v38
	v_lshlrev_b64 v[38:39], 4, v[38:39]
	v_mov_b32_e32 v15, s27
	v_add_co_u32_e32 v38, vcc, s26, v38
	v_addc_co_u32_e32 v39, vcc, v15, v39, vcc
	global_load_dwordx4 v[38:41], v[38:39], off
	s_waitcnt vmcnt(0)
	v_mul_f64 v[42:43], v[40:41], -v[6:7]
	v_mul_f64 v[44:45], v[4:5], v[40:41]
	v_fmac_f64_e32 v[42:43], v[4:5], v[38:39]
	v_fmac_f64_e32 v[44:45], v[6:7], v[38:39]
	ds_write_b128 v33, v[42:45]
	s_cbranch_execnz .LBB29_30
.LBB29_29:                              ;   in Loop: Header=BB29_25 Depth=2
	v_add_u32_e32 v38, s33, v26
	v_ashrrev_i32_e32 v39, 31, v38
	v_lshlrev_b64 v[38:39], 4, v[38:39]
	v_mov_b32_e32 v15, s27
	v_add_co_u32_e32 v38, vcc, s26, v38
	v_addc_co_u32_e32 v39, vcc, v15, v39, vcc
	global_load_dwordx4 v[38:41], v[38:39], off
	s_waitcnt vmcnt(0)
	v_mul_f64 v[42:43], v[40:41], -v[6:7]
	v_mul_f64 v[44:45], v[4:5], v[40:41]
	v_fmac_f64_e32 v[42:43], v[4:5], v[38:39]
	v_fmac_f64_e32 v[44:45], v[6:7], v[38:39]
	ds_write_b128 v34, v[42:45]
.LBB29_30:                              ;   in Loop: Header=BB29_25 Depth=2
	s_or_b64 exec, exec, s[36:37]
                                        ; implicit-def: $vgpr15
	s_andn2_saveexec_b64 s[34:35], s[34:35]
	s_branch .LBB29_32
.LBB29_31:                              ;   in Loop: Header=BB29_25 Depth=2
	s_andn2_saveexec_b64 s[34:35], s[34:35]
.LBB29_32:                              ;   in Loop: Header=BB29_25 Depth=2
	v_min_i32_e32 v13, v15, v13
; %bb.33:                               ;   in Loop: Header=BB29_25 Depth=2
	s_or_b64 exec, exec, s[34:35]
	s_mov_b64 s[34:35], -1
                                        ; implicit-def: $vgpr15
	s_and_saveexec_b64 s[36:37], s[6:7]
	s_cbranch_execz .LBB29_24
; %bb.34:                               ;   in Loop: Header=BB29_25 Depth=2
	v_add_co_u32_e32 v30, vcc, 4, v30
	v_add_u32_e32 v15, 1, v12
	v_addc_co_u32_e32 v31, vcc, 0, v31, vcc
	v_cmp_ge_i32_e32 vcc, v15, v19
	s_add_i32 s33, s33, s15
	s_orn2_b64 s[34:35], vcc, exec
	v_mov_b32_e32 v12, v19
	s_branch .LBB29_24
.LBB29_35:                              ;   in Loop: Header=BB29_25 Depth=2
	s_branch .LBB29_29
.LBB29_36:                              ;   in Loop: Header=BB29_22 Depth=1
	s_or_b64 exec, exec, s[30:31]
	v_mov_b32_e32 v12, v27
.LBB29_37:                              ;   in Loop: Header=BB29_22 Depth=1
	s_or_b64 exec, exec, s[28:29]
	v_cmp_lt_i32_e32 vcc, v14, v21
	s_waitcnt lgkmcnt(0)
	; wave barrier
	s_waitcnt lgkmcnt(0)
	s_and_saveexec_b64 s[28:29], vcc
	s_cbranch_execz .LBB29_52
; %bb.38:                               ;   in Loop: Header=BB29_22 Depth=1
	v_mul_lo_u32 v15, s19, v14
	v_add_u32_e32 v26, v18, v15
	v_add_u32_e32 v15, v20, v15
	v_mad_u64_u32 v[28:29], s[6:7], s19, v15, v[18:19]
	v_ashrrev_i32_e32 v15, 31, v14
	v_lshlrev_b64 v[30:31], 2, v[14:15]
	v_mov_b32_e32 v15, s23
	v_add_co_u32_e32 v30, vcc, s22, v30
	v_mad_u64_u32 v[26:27], s[6:7], s19, v26, v[20:21]
	v_addc_co_u32_e32 v31, vcc, v15, v31, vcc
	s_mov_b32 s33, 0
	s_mov_b64 s[30:31], 0
	s_branch .LBB29_40
.LBB29_39:                              ;   in Loop: Header=BB29_40 Depth=2
	s_or_b64 exec, exec, s[36:37]
	s_and_b64 s[6:7], exec, s[34:35]
	v_mov_b32_e32 v27, v14
	s_or_b64 s[30:31], s[6:7], s[30:31]
	v_mov_b32_e32 v14, v15
	s_andn2_b64 exec, exec, s[30:31]
	s_cbranch_execz .LBB29_51
.LBB29_40:                              ;   Parent Loop BB29_22 Depth=1
                                        ; =>  This Inner Loop Header: Depth=2
	global_load_dword v15, v[30:31], off
	s_waitcnt vmcnt(0)
	v_subrev_u32_e32 v15, s13, v15
	v_cmp_le_i32_e64 s[6:7], v15, v17
	s_and_saveexec_b64 s[34:35], s[6:7]
	s_xor_b64 s[34:35], exec, s[34:35]
	s_cbranch_execz .LBB29_46
; %bb.41:                               ;   in Loop: Header=BB29_40 Depth=2
	ds_write_b32 v25, v36
	s_and_saveexec_b64 s[36:37], s[4:5]
	s_cbranch_execz .LBB29_45
; %bb.42:                               ;   in Loop: Header=BB29_40 Depth=2
	s_and_b64 vcc, exec, s[16:17]
	s_cbranch_vccz .LBB29_50
; %bb.43:                               ;   in Loop: Header=BB29_40 Depth=2
	v_add_u32_e32 v38, s33, v28
	v_ashrrev_i32_e32 v39, 31, v38
	v_lshlrev_b64 v[38:39], 4, v[38:39]
	v_mov_b32_e32 v15, s25
	v_add_co_u32_e32 v38, vcc, s24, v38
	v_addc_co_u32_e32 v39, vcc, v15, v39, vcc
	global_load_dwordx4 v[38:41], v[38:39], off
	ds_read_b128 v[42:45], v33
	s_waitcnt vmcnt(0) lgkmcnt(0)
	v_fmac_f64_e32 v[42:43], v[8:9], v[38:39]
	v_fmac_f64_e32 v[44:45], v[10:11], v[38:39]
	v_fma_f64 v[42:43], -v[10:11], v[40:41], v[42:43]
	v_fmac_f64_e32 v[44:45], v[8:9], v[40:41]
	ds_write_b128 v33, v[42:45]
	s_cbranch_execnz .LBB29_45
.LBB29_44:                              ;   in Loop: Header=BB29_40 Depth=2
	v_add_u32_e32 v38, s33, v26
	v_ashrrev_i32_e32 v39, 31, v38
	v_lshlrev_b64 v[38:39], 4, v[38:39]
	v_mov_b32_e32 v15, s25
	v_add_co_u32_e32 v38, vcc, s24, v38
	v_addc_co_u32_e32 v39, vcc, v15, v39, vcc
	global_load_dwordx4 v[38:41], v[38:39], off
	ds_read_b128 v[42:45], v34
	s_waitcnt vmcnt(0) lgkmcnt(0)
	v_fmac_f64_e32 v[42:43], v[8:9], v[38:39]
	v_fmac_f64_e32 v[44:45], v[10:11], v[38:39]
	v_fma_f64 v[42:43], -v[10:11], v[40:41], v[42:43]
	v_fmac_f64_e32 v[44:45], v[8:9], v[40:41]
	ds_write_b128 v34, v[42:45]
.LBB29_45:                              ;   in Loop: Header=BB29_40 Depth=2
	s_or_b64 exec, exec, s[36:37]
                                        ; implicit-def: $vgpr15
	s_andn2_saveexec_b64 s[34:35], s[34:35]
	s_branch .LBB29_47
.LBB29_46:                              ;   in Loop: Header=BB29_40 Depth=2
	s_andn2_saveexec_b64 s[34:35], s[34:35]
.LBB29_47:                              ;   in Loop: Header=BB29_40 Depth=2
	v_min_i32_e32 v13, v15, v13
; %bb.48:                               ;   in Loop: Header=BB29_40 Depth=2
	s_or_b64 exec, exec, s[34:35]
	s_mov_b64 s[34:35], -1
                                        ; implicit-def: $vgpr15
	s_and_saveexec_b64 s[36:37], s[6:7]
	s_cbranch_execz .LBB29_39
; %bb.49:                               ;   in Loop: Header=BB29_40 Depth=2
	v_add_co_u32_e32 v30, vcc, 4, v30
	v_add_u32_e32 v15, 1, v14
	v_addc_co_u32_e32 v31, vcc, 0, v31, vcc
	v_cmp_ge_i32_e32 vcc, v15, v21
	s_add_i32 s33, s33, s15
	s_orn2_b64 s[34:35], vcc, exec
	v_mov_b32_e32 v14, v21
	s_branch .LBB29_39
.LBB29_50:                              ;   in Loop: Header=BB29_40 Depth=2
	s_branch .LBB29_44
.LBB29_51:                              ;   in Loop: Header=BB29_22 Depth=1
	s_or_b64 exec, exec, s[30:31]
	v_mov_b32_e32 v14, v27
.LBB29_52:                              ;   in Loop: Header=BB29_22 Depth=1
	s_or_b64 exec, exec, s[28:29]
	s_waitcnt lgkmcnt(0)
	; wave barrier
	s_waitcnt lgkmcnt(0)
	ds_read_b32 v15, v25
	s_waitcnt lgkmcnt(0)
	v_cmp_ne_u32_e32 vcc, 0, v15
	s_and_saveexec_b64 s[6:7], vcc
	s_cbranch_execz .LBB29_21
; %bb.53:                               ;   in Loop: Header=BB29_22 Depth=1
	v_add_u32_e32 v15, s14, v17
	v_ashrrev_i32_e32 v17, 31, v16
	v_lshlrev_b64 v[26:27], 2, v[16:17]
	v_mov_b32_e32 v17, s9
	v_add_co_u32_e32 v26, vcc, s8, v26
	v_addc_co_u32_e32 v27, vcc, v17, v27, vcc
	global_store_dword v[26:27], v15, off
	s_and_b64 exec, exec, s[4:5]
	s_cbranch_execz .LBB29_21
; %bb.54:                               ;   in Loop: Header=BB29_22 Depth=1
	v_mad_u64_u32 v[26:27], s[28:29], v16, s19, v[22:23]
	v_mad_u64_u32 v[26:27], s[28:29], v26, s19, v[24:25]
	v_ashrrev_i32_e32 v27, 31, v26
	v_lshlrev_b64 v[30:31], 4, v[26:27]
	ds_read2_b64 v[26:29], v35 offset1:1
	v_mov_b32_e32 v15, s11
	v_add_co_u32_e32 v30, vcc, s10, v30
	v_addc_co_u32_e32 v31, vcc, v15, v31, vcc
	s_waitcnt lgkmcnt(0)
	global_store_dwordx4 v[30:31], v[26:29], off
	s_branch .LBB29_21
	.section	.rodata,"a",@progbits
	.p2align	6, 0x0
	.amdhsa_kernel _ZN9rocsparseL35bsrgeam_wf_per_row_multipass_kernelILj64ELj8E21rocsparse_complex_numIdEEEv20rocsparse_direction_iiiNS_24const_host_device_scalarIT1_EEPKiS8_PKS5_S6_S8_S8_SA_S8_PiPS5_21rocsparse_index_base_SD_SD_b
		.amdhsa_group_segment_fixed_size 1544
		.amdhsa_private_segment_fixed_size 16
		.amdhsa_kernarg_size 136
		.amdhsa_user_sgpr_count 10
		.amdhsa_user_sgpr_private_segment_buffer 1
		.amdhsa_user_sgpr_dispatch_ptr 1
		.amdhsa_user_sgpr_queue_ptr 0
		.amdhsa_user_sgpr_kernarg_segment_ptr 1
		.amdhsa_user_sgpr_dispatch_id 0
		.amdhsa_user_sgpr_flat_scratch_init 1
		.amdhsa_user_sgpr_kernarg_preload_length 0
		.amdhsa_user_sgpr_kernarg_preload_offset 0
		.amdhsa_user_sgpr_private_segment_size 0
		.amdhsa_uses_dynamic_stack 0
		.amdhsa_system_sgpr_private_segment_wavefront_offset 1
		.amdhsa_system_sgpr_workgroup_id_x 1
		.amdhsa_system_sgpr_workgroup_id_y 0
		.amdhsa_system_sgpr_workgroup_id_z 0
		.amdhsa_system_sgpr_workgroup_info 0
		.amdhsa_system_vgpr_workitem_id 2
		.amdhsa_next_free_vgpr 46
		.amdhsa_next_free_sgpr 38
		.amdhsa_accum_offset 48
		.amdhsa_reserve_vcc 1
		.amdhsa_reserve_flat_scratch 1
		.amdhsa_float_round_mode_32 0
		.amdhsa_float_round_mode_16_64 0
		.amdhsa_float_denorm_mode_32 3
		.amdhsa_float_denorm_mode_16_64 3
		.amdhsa_dx10_clamp 1
		.amdhsa_ieee_mode 1
		.amdhsa_fp16_overflow 0
		.amdhsa_tg_split 0
		.amdhsa_exception_fp_ieee_invalid_op 0
		.amdhsa_exception_fp_denorm_src 0
		.amdhsa_exception_fp_ieee_div_zero 0
		.amdhsa_exception_fp_ieee_overflow 0
		.amdhsa_exception_fp_ieee_underflow 0
		.amdhsa_exception_fp_ieee_inexact 0
		.amdhsa_exception_int_div_zero 0
	.end_amdhsa_kernel
	.section	.text._ZN9rocsparseL35bsrgeam_wf_per_row_multipass_kernelILj64ELj8E21rocsparse_complex_numIdEEEv20rocsparse_direction_iiiNS_24const_host_device_scalarIT1_EEPKiS8_PKS5_S6_S8_S8_SA_S8_PiPS5_21rocsparse_index_base_SD_SD_b,"axG",@progbits,_ZN9rocsparseL35bsrgeam_wf_per_row_multipass_kernelILj64ELj8E21rocsparse_complex_numIdEEEv20rocsparse_direction_iiiNS_24const_host_device_scalarIT1_EEPKiS8_PKS5_S6_S8_S8_SA_S8_PiPS5_21rocsparse_index_base_SD_SD_b,comdat
.Lfunc_end29:
	.size	_ZN9rocsparseL35bsrgeam_wf_per_row_multipass_kernelILj64ELj8E21rocsparse_complex_numIdEEEv20rocsparse_direction_iiiNS_24const_host_device_scalarIT1_EEPKiS8_PKS5_S6_S8_S8_SA_S8_PiPS5_21rocsparse_index_base_SD_SD_b, .Lfunc_end29-_ZN9rocsparseL35bsrgeam_wf_per_row_multipass_kernelILj64ELj8E21rocsparse_complex_numIdEEEv20rocsparse_direction_iiiNS_24const_host_device_scalarIT1_EEPKiS8_PKS5_S6_S8_S8_SA_S8_PiPS5_21rocsparse_index_base_SD_SD_b
                                        ; -- End function
	.section	.AMDGPU.csdata,"",@progbits
; Kernel info:
; codeLenInByte = 2068
; NumSgprs: 44
; NumVgprs: 46
; NumAgprs: 0
; TotalNumVgprs: 46
; ScratchSize: 16
; MemoryBound: 0
; FloatMode: 240
; IeeeMode: 1
; LDSByteSize: 1544 bytes/workgroup (compile time only)
; SGPRBlocks: 5
; VGPRBlocks: 5
; NumSGPRsForWavesPerEU: 44
; NumVGPRsForWavesPerEU: 46
; AccumOffset: 48
; Occupancy: 8
; WaveLimiterHint : 0
; COMPUTE_PGM_RSRC2:SCRATCH_EN: 1
; COMPUTE_PGM_RSRC2:USER_SGPR: 10
; COMPUTE_PGM_RSRC2:TRAP_HANDLER: 0
; COMPUTE_PGM_RSRC2:TGID_X_EN: 1
; COMPUTE_PGM_RSRC2:TGID_Y_EN: 0
; COMPUTE_PGM_RSRC2:TGID_Z_EN: 0
; COMPUTE_PGM_RSRC2:TIDIG_COMP_CNT: 2
; COMPUTE_PGM_RSRC3_GFX90A:ACCUM_OFFSET: 11
; COMPUTE_PGM_RSRC3_GFX90A:TG_SPLIT: 0
	.section	.text._ZN9rocsparseL39bsrgeam_block_per_row_multipass_kernel2ILj256ELj16E21rocsparse_complex_numIdEEEv20rocsparse_direction_iiiNS_24const_host_device_scalarIT1_EEPKiS8_PKS5_S6_S8_S8_SA_S8_PiPS5_21rocsparse_index_base_SD_SD_b,"axG",@progbits,_ZN9rocsparseL39bsrgeam_block_per_row_multipass_kernel2ILj256ELj16E21rocsparse_complex_numIdEEEv20rocsparse_direction_iiiNS_24const_host_device_scalarIT1_EEPKiS8_PKS5_S6_S8_S8_SA_S8_PiPS5_21rocsparse_index_base_SD_SD_b,comdat
	.globl	_ZN9rocsparseL39bsrgeam_block_per_row_multipass_kernel2ILj256ELj16E21rocsparse_complex_numIdEEEv20rocsparse_direction_iiiNS_24const_host_device_scalarIT1_EEPKiS8_PKS5_S6_S8_S8_SA_S8_PiPS5_21rocsparse_index_base_SD_SD_b ; -- Begin function _ZN9rocsparseL39bsrgeam_block_per_row_multipass_kernel2ILj256ELj16E21rocsparse_complex_numIdEEEv20rocsparse_direction_iiiNS_24const_host_device_scalarIT1_EEPKiS8_PKS5_S6_S8_S8_SA_S8_PiPS5_21rocsparse_index_base_SD_SD_b
	.p2align	8
	.type	_ZN9rocsparseL39bsrgeam_block_per_row_multipass_kernel2ILj256ELj16E21rocsparse_complex_numIdEEEv20rocsparse_direction_iiiNS_24const_host_device_scalarIT1_EEPKiS8_PKS5_S6_S8_S8_SA_S8_PiPS5_21rocsparse_index_base_SD_SD_b,@function
_ZN9rocsparseL39bsrgeam_block_per_row_multipass_kernel2ILj256ELj16E21rocsparse_complex_numIdEEEv20rocsparse_direction_iiiNS_24const_host_device_scalarIT1_EEPKiS8_PKS5_S6_S8_S8_SA_S8_PiPS5_21rocsparse_index_base_SD_SD_b: ; @_ZN9rocsparseL39bsrgeam_block_per_row_multipass_kernel2ILj256ELj16E21rocsparse_complex_numIdEEEv20rocsparse_direction_iiiNS_24const_host_device_scalarIT1_EEPKiS8_PKS5_S6_S8_S8_SA_S8_PiPS5_21rocsparse_index_base_SD_SD_b
; %bb.0:
	s_add_u32 flat_scratch_lo, s8, s11
	s_addc_u32 flat_scratch_hi, s9, 0
	s_add_u32 s0, s0, s11
	s_load_dwordx2 s[28:29], s[4:5], 0x4
	s_addc_u32 s1, s1, 0
	s_load_dwordx4 s[12:15], s[6:7], 0x78
	s_load_dwordx4 s[20:23], s[6:7], 0x10
	s_load_dwordx2 s[24:25], s[6:7], 0x20
	s_load_dwordx4 s[16:19], s[6:7], 0x38
	s_load_dwordx2 s[8:9], s[6:7], 0x48
	s_waitcnt lgkmcnt(0)
	s_bitcmp1_b32 s15, 0
	s_cselect_b64 s[4:5], -1, 0
	s_mov_b64 s[26:27], src_shared_base
	s_and_b64 vcc, s[4:5], exec
	s_cselect_b32 s11, s27, s21
	s_lshr_b32 s15, s28, 16
	v_and_b32_e32 v1, 0x3ff, v0
	s_mul_i32 s15, s15, s29
	v_mul_lo_u32 v2, s15, v1
	v_bfe_u32 v3, v0, 10, 10
	v_mad_u32_u24 v2, v3, s29, v2
	v_bfe_u32 v0, v0, 20, 10
	v_add_lshl_u32 v0, v2, v0, 3
	v_pk_mov_b32 v[2:3], s[20:21], s[20:21] op_sel:[0,1]
	v_add_u32_e32 v5, 0x1008, v0
	ds_write_b64 v0, v[2:3] offset:4104
	v_mov_b32_e32 v0, s16
	v_mov_b32_e32 v4, s20
	buffer_store_dword v0, off, s[0:3], 0
	v_mov_b32_e32 v0, s17
	buffer_store_dword v0, off, s[0:3], 0 offset:4
	v_cndmask_b32_e64 v2, v4, v5, s[4:5]
	v_mov_b32_e32 v3, s11
	flat_load_dwordx2 v[4:5], v[2:3]
	s_load_dwordx2 s[26:27], s[6:7], 0x60
	s_xor_b64 s[28:29], s[4:5], -1
	v_pk_mov_b32 v[6:7], s[22:23], s[22:23] op_sel:[0,1]
	s_cbranch_vccnz .LBB30_2
; %bb.1:
	v_pk_mov_b32 v[2:3], s[20:21], s[20:21] op_sel:[0,1]
	flat_load_dwordx2 v[6:7], v[2:3] offset:8
.LBB30_2:
	s_mov_b64 s[20:21], src_private_base
	s_and_b64 s[22:23], s[4:5], exec
	s_cselect_b32 s11, s21, s17
	v_mov_b32_e32 v0, 0
	v_mov_b32_e32 v2, s16
	v_cndmask_b32_e64 v2, v2, v0, s[4:5]
	v_mov_b32_e32 v3, s11
	flat_load_dwordx2 v[8:9], v[2:3]
	s_load_dwordx2 s[20:21], s[6:7], 0x28
	s_andn2_b64 vcc, exec, s[28:29]
	v_pk_mov_b32 v[10:11], s[18:19], s[18:19] op_sel:[0,1]
	s_cbranch_vccnz .LBB30_4
; %bb.3:
	v_pk_mov_b32 v[2:3], s[16:17], s[16:17] op_sel:[0,1]
	flat_load_dwordx2 v[10:11], v[2:3] offset:8
.LBB30_4:
	s_ashr_i32 s11, s10, 31
	s_lshl_b64 s[10:11], s[10:11], 2
	s_add_u32 s22, s24, s10
	s_addc_u32 s23, s25, s11
	s_load_dwordx2 s[4:5], s[22:23], 0x0
	s_load_dwordx2 s[16:17], s[6:7], 0x50
	;; [unrolled: 1-line block ×3, first 2 shown]
	s_waitcnt lgkmcnt(0)
	s_sub_i32 s34, s4, s12
	s_add_u32 s8, s8, s10
	s_addc_u32 s9, s9, s11
	s_load_dwordx2 s[28:29], s[8:9], 0x0
	s_add_u32 s26, s26, s10
	s_addc_u32 s27, s27, s11
	s_cmp_ge_i32 s4, s5
	s_mov_b32 s4, s18
	s_cbranch_scc1 .LBB30_6
; %bb.5:
	s_ashr_i32 s35, s34, 31
	s_lshl_b64 s[8:9], s[34:35], 2
	s_add_u32 s8, s20, s8
	s_addc_u32 s9, s21, s9
	s_load_dword s4, s[8:9], 0x0
	s_waitcnt lgkmcnt(0)
	s_sub_i32 s4, s4, s12
.LBB30_6:
	s_load_dwordx4 s[8:11], s[6:7], 0x68
	s_load_dwordx2 s[22:23], s[6:7], 0x58
	s_load_dwordx2 s[24:25], s[6:7], 0x30
	s_load_dword s30, s[26:27], 0x0
	s_waitcnt lgkmcnt(0)
	s_sub_i32 s36, s28, s13
	s_cmp_ge_i32 s28, s29
	s_mov_b32 s27, s18
	s_cbranch_scc1 .LBB30_8
; %bb.7:
	s_ashr_i32 s37, s36, 31
	s_lshl_b64 s[26:27], s[36:37], 2
	s_add_u32 s26, s16, s26
	s_addc_u32 s27, s17, s27
	s_load_dword s15, s[26:27], 0x0
	s_waitcnt lgkmcnt(0)
	s_sub_i32 s27, s15, s13
.LBB30_8:
	s_load_dword s28, s[6:7], 0x0
	v_and_b32_e32 v12, 15, v1
	v_lshrrev_b32_e32 v14, 4, v1
	s_sub_i32 s15, s5, s12
	s_min_i32 s27, s27, s4
	v_cmp_gt_u32_e32 vcc, s19, v12
	v_cmp_gt_i32_e64 s[4:5], s19, v14
	s_sub_i32 s33, s29, s13
	s_sub_i32 s26, s30, s14
	s_and_b64 s[6:7], vcc, s[4:5]
	s_waitcnt lgkmcnt(0)
	s_cmp_eq_u32 s28, 0
	v_and_b32_e32 v0, 0xf0, v1
	v_lshlrev_b32_e32 v13, 4, v1
	s_cselect_b64 vcc, -1, 0
	s_cmp_lg_u32 s28, 0
	v_lshl_or_b32 v15, v12, 8, v0
	v_mov_b32_e32 v23, 0
	s_cselect_b64 s[28:29], -1, 0
	v_cndmask_b32_e32 v17, v12, v14, vcc
	v_cndmask_b32_e32 v16, v14, v12, vcc
	;; [unrolled: 1-line block ×3, first 2 shown]
	s_mul_i32 s44, s19, s19
	s_mov_b64 s[30:31], 0
	v_mov_b32_e32 v32, s27
	v_mov_b32_e32 v18, s36
	;; [unrolled: 1-line block ×8, first 2 shown]
	s_branch .LBB30_11
.LBB30_9:                               ;   in Loop: Header=BB30_11 Depth=1
	s_or_b64 exec, exec, s[4:5]
.LBB30_10:                              ;   in Loop: Header=BB30_11 Depth=1
	s_barrier
	ds_read_b32 v19, v23 offset:4096
	v_cmp_le_i32_e32 vcc, s18, v21
	v_mov_b32_e32 v32, v21
	s_waitcnt lgkmcnt(0)
	s_barrier
	v_readfirstlane_b32 s4, v19
	s_add_i32 s26, s4, s26
	s_or_b64 s[30:31], vcc, s[30:31]
	s_andn2_b64 exec, exec, s[30:31]
	s_cbranch_execz .LBB30_44
.LBB30_11:                              ; =>This Loop Header: Depth=1
                                        ;     Child Loop BB30_14 Depth 2
                                        ;     Child Loop BB30_29 Depth 2
	v_cmp_gt_i32_e32 vcc, s15, v20
	v_mov_b32_e32 v21, s18
	ds_write_b32 v23, v23 offset:4096
	ds_write_b128 v13, v[0:3]
	s_waitcnt lgkmcnt(0)
	s_barrier
	s_and_saveexec_b64 s[34:35], vcc
	s_cbranch_execz .LBB30_26
; %bb.12:                               ;   in Loop: Header=BB30_11 Depth=1
	v_mul_lo_u32 v19, s19, v20
	v_add_u32_e32 v21, v14, v19
	v_mad_u64_u32 v[24:25], s[4:5], s19, v21, v[12:13]
	v_ashrrev_i32_e32 v21, 31, v20
	v_add_u32_e32 v19, v12, v19
	v_lshlrev_b64 v[28:29], 2, v[20:21]
	v_mad_u64_u32 v[26:27], s[4:5], s19, v19, v[14:15]
	v_mov_b32_e32 v19, s21
	v_add_co_u32_e32 v28, vcc, s20, v28
	v_addc_co_u32_e32 v29, vcc, v19, v29, vcc
	s_mov_b32 s27, 0
	s_mov_b64 s[36:37], 0
	v_mov_b32_e32 v21, s18
	s_branch .LBB30_14
.LBB30_13:                              ;   in Loop: Header=BB30_14 Depth=2
	s_or_b64 exec, exec, s[40:41]
	s_and_b64 s[4:5], exec, s[38:39]
	s_or_b64 s[36:37], s[4:5], s[36:37]
	s_andn2_b64 exec, exec, s[36:37]
	s_cbranch_execz .LBB30_25
.LBB30_14:                              ;   Parent Loop BB30_11 Depth=1
                                        ; =>  This Inner Loop Header: Depth=2
	global_load_dword v19, v[28:29], off
	s_waitcnt vmcnt(0)
	v_subrev_u32_e32 v19, s12, v19
	v_cmp_eq_u32_e64 s[4:5], v19, v32
	v_cmp_ne_u32_e32 vcc, v19, v32
	s_and_saveexec_b64 s[38:39], vcc
	s_xor_b64 s[38:39], exec, s[38:39]
	s_cbranch_execnz .LBB30_17
; %bb.15:                               ;   in Loop: Header=BB30_14 Depth=2
	s_andn2_saveexec_b64 s[38:39], s[38:39]
	s_cbranch_execnz .LBB30_18
.LBB30_16:                              ;   in Loop: Header=BB30_14 Depth=2
	s_or_b64 exec, exec, s[38:39]
	s_mov_b64 s[38:39], -1
	s_and_saveexec_b64 s[40:41], s[4:5]
	s_cbranch_execz .LBB30_13
	s_branch .LBB30_24
.LBB30_17:                              ;   in Loop: Header=BB30_14 Depth=2
	v_min_i32_e32 v21, v19, v21
	s_andn2_saveexec_b64 s[38:39], s[38:39]
	s_cbranch_execz .LBB30_16
.LBB30_18:                              ;   in Loop: Header=BB30_14 Depth=2
	ds_write_b32 v23, v31 offset:4096
	s_and_saveexec_b64 s[40:41], s[6:7]
	s_cbranch_execz .LBB30_23
; %bb.19:                               ;   in Loop: Header=BB30_14 Depth=2
	s_and_b64 vcc, exec, s[28:29]
	s_cbranch_vccz .LBB30_21
; %bb.20:                               ;   in Loop: Header=BB30_14 Depth=2
	v_add_u32_e32 v22, s27, v26
	v_lshlrev_b64 v[34:35], 4, v[22:23]
	v_mov_b32_e32 v19, s25
	v_add_co_u32_e32 v34, vcc, s24, v34
	v_addc_co_u32_e32 v35, vcc, v19, v35, vcc
	global_load_dwordx4 v[34:37], v[34:35], off
	s_waitcnt vmcnt(0)
	v_mul_f64 v[38:39], v[36:37], -v[6:7]
	v_mul_f64 v[40:41], v[4:5], v[36:37]
	v_fmac_f64_e32 v[38:39], v[4:5], v[34:35]
	v_fmac_f64_e32 v[40:41], v[6:7], v[34:35]
	ds_write_b128 v15, v[38:41]
	s_cbranch_execz .LBB30_22
	s_branch .LBB30_23
.LBB30_21:                              ;   in Loop: Header=BB30_14 Depth=2
.LBB30_22:                              ;   in Loop: Header=BB30_14 Depth=2
	v_add_u32_e32 v22, s27, v24
	v_lshlrev_b64 v[34:35], 4, v[22:23]
	v_mov_b32_e32 v19, s25
	v_add_co_u32_e32 v34, vcc, s24, v34
	v_addc_co_u32_e32 v35, vcc, v19, v35, vcc
	global_load_dwordx4 v[34:37], v[34:35], off
	s_waitcnt vmcnt(0)
	v_mul_f64 v[38:39], v[36:37], -v[6:7]
	v_mul_f64 v[40:41], v[4:5], v[36:37]
	v_fmac_f64_e32 v[38:39], v[4:5], v[34:35]
	v_fmac_f64_e32 v[40:41], v[6:7], v[34:35]
	ds_write_b128 v13, v[38:41]
.LBB30_23:                              ;   in Loop: Header=BB30_14 Depth=2
	s_or_b64 exec, exec, s[40:41]
	s_or_b64 exec, exec, s[38:39]
	s_mov_b64 s[38:39], -1
	s_and_saveexec_b64 s[40:41], s[4:5]
	s_cbranch_execz .LBB30_13
.LBB30_24:                              ;   in Loop: Header=BB30_14 Depth=2
	v_add_co_u32_e32 v28, vcc, 4, v28
	v_add_u32_e32 v20, 1, v20
	v_addc_co_u32_e32 v29, vcc, 0, v29, vcc
	v_cmp_le_i32_e32 vcc, s15, v20
	s_add_i32 s27, s27, s44
	s_orn2_b64 s[38:39], vcc, exec
	s_branch .LBB30_13
.LBB30_25:                              ;   in Loop: Header=BB30_11 Depth=1
	s_or_b64 exec, exec, s[36:37]
.LBB30_26:                              ;   in Loop: Header=BB30_11 Depth=1
	s_or_b64 exec, exec, s[34:35]
	v_cmp_gt_i32_e32 vcc, s33, v18
	s_waitcnt lgkmcnt(0)
	s_barrier
	s_and_saveexec_b64 s[34:35], vcc
	s_cbranch_execz .LBB30_41
; %bb.27:                               ;   in Loop: Header=BB30_11 Depth=1
	v_mul_lo_u32 v19, s19, v18
	v_add_u32_e32 v22, v14, v19
	v_add_u32_e32 v19, v12, v19
	v_mad_u64_u32 v[26:27], s[4:5], s19, v19, v[14:15]
	v_ashrrev_i32_e32 v19, 31, v18
	v_lshlrev_b64 v[28:29], 2, v[18:19]
	v_mov_b32_e32 v19, s17
	v_add_co_u32_e32 v28, vcc, s16, v28
	v_mad_u64_u32 v[24:25], s[4:5], s19, v22, v[12:13]
	v_addc_co_u32_e32 v29, vcc, v19, v29, vcc
	s_mov_b32 s27, 0
	s_mov_b64 s[36:37], 0
	s_branch .LBB30_29
.LBB30_28:                              ;   in Loop: Header=BB30_29 Depth=2
	s_or_b64 exec, exec, s[40:41]
	s_and_b64 s[4:5], exec, s[38:39]
	s_or_b64 s[36:37], s[4:5], s[36:37]
	s_andn2_b64 exec, exec, s[36:37]
	s_cbranch_execz .LBB30_40
.LBB30_29:                              ;   Parent Loop BB30_11 Depth=1
                                        ; =>  This Inner Loop Header: Depth=2
	global_load_dword v19, v[28:29], off
	s_waitcnt vmcnt(0)
	v_subrev_u32_e32 v19, s13, v19
	v_cmp_eq_u32_e64 s[4:5], v19, v32
	v_cmp_ne_u32_e32 vcc, v19, v32
	s_and_saveexec_b64 s[38:39], vcc
	s_xor_b64 s[38:39], exec, s[38:39]
	s_cbranch_execnz .LBB30_32
; %bb.30:                               ;   in Loop: Header=BB30_29 Depth=2
	s_andn2_saveexec_b64 s[38:39], s[38:39]
	s_cbranch_execnz .LBB30_33
.LBB30_31:                              ;   in Loop: Header=BB30_29 Depth=2
	s_or_b64 exec, exec, s[38:39]
	s_mov_b64 s[38:39], -1
	s_and_saveexec_b64 s[40:41], s[4:5]
	s_cbranch_execz .LBB30_28
	s_branch .LBB30_39
.LBB30_32:                              ;   in Loop: Header=BB30_29 Depth=2
	v_min_i32_e32 v21, v19, v21
	s_andn2_saveexec_b64 s[38:39], s[38:39]
	s_cbranch_execz .LBB30_31
.LBB30_33:                              ;   in Loop: Header=BB30_29 Depth=2
	ds_write_b32 v23, v31 offset:4096
	s_and_saveexec_b64 s[40:41], s[6:7]
	s_cbranch_execz .LBB30_38
; %bb.34:                               ;   in Loop: Header=BB30_29 Depth=2
	s_and_b64 vcc, exec, s[28:29]
	s_cbranch_vccz .LBB30_36
; %bb.35:                               ;   in Loop: Header=BB30_29 Depth=2
	v_add_u32_e32 v22, s27, v26
	v_lshlrev_b64 v[34:35], 4, v[22:23]
	v_mov_b32_e32 v19, s23
	v_add_co_u32_e32 v34, vcc, s22, v34
	v_addc_co_u32_e32 v35, vcc, v19, v35, vcc
	global_load_dwordx4 v[34:37], v[34:35], off
	ds_read_b128 v[38:41], v15
	s_waitcnt vmcnt(0) lgkmcnt(0)
	v_fmac_f64_e32 v[38:39], v[8:9], v[34:35]
	v_fmac_f64_e32 v[40:41], v[10:11], v[34:35]
	v_fma_f64 v[38:39], -v[10:11], v[36:37], v[38:39]
	v_fmac_f64_e32 v[40:41], v[8:9], v[36:37]
	ds_write_b128 v15, v[38:41]
	s_cbranch_execz .LBB30_37
	s_branch .LBB30_38
.LBB30_36:                              ;   in Loop: Header=BB30_29 Depth=2
.LBB30_37:                              ;   in Loop: Header=BB30_29 Depth=2
	v_add_u32_e32 v22, s27, v24
	v_lshlrev_b64 v[34:35], 4, v[22:23]
	v_mov_b32_e32 v19, s23
	v_add_co_u32_e32 v34, vcc, s22, v34
	v_addc_co_u32_e32 v35, vcc, v19, v35, vcc
	global_load_dwordx4 v[34:37], v[34:35], off
	ds_read_b128 v[38:41], v13
	s_waitcnt vmcnt(0) lgkmcnt(0)
	v_fmac_f64_e32 v[38:39], v[8:9], v[34:35]
	v_fmac_f64_e32 v[40:41], v[10:11], v[34:35]
	v_fma_f64 v[38:39], -v[10:11], v[36:37], v[38:39]
	v_fmac_f64_e32 v[40:41], v[8:9], v[36:37]
	ds_write_b128 v13, v[38:41]
.LBB30_38:                              ;   in Loop: Header=BB30_29 Depth=2
	s_or_b64 exec, exec, s[40:41]
	s_or_b64 exec, exec, s[38:39]
	s_mov_b64 s[38:39], -1
	s_and_saveexec_b64 s[40:41], s[4:5]
	s_cbranch_execz .LBB30_28
.LBB30_39:                              ;   in Loop: Header=BB30_29 Depth=2
	v_add_co_u32_e32 v28, vcc, 4, v28
	v_add_u32_e32 v18, 1, v18
	v_addc_co_u32_e32 v29, vcc, 0, v29, vcc
	v_cmp_le_i32_e32 vcc, s33, v18
	s_add_i32 s27, s27, s44
	s_orn2_b64 s[38:39], vcc, exec
	s_branch .LBB30_28
.LBB30_40:                              ;   in Loop: Header=BB30_11 Depth=1
	s_or_b64 exec, exec, s[36:37]
.LBB30_41:                              ;   in Loop: Header=BB30_11 Depth=1
	s_or_b64 exec, exec, s[34:35]
	s_waitcnt lgkmcnt(0)
	s_barrier
	ds_read_b32 v19, v23 offset:4096
	s_waitcnt lgkmcnt(0)
	v_cmp_eq_u32_e32 vcc, 0, v19
	s_cbranch_vccnz .LBB30_10
; %bb.42:                               ;   in Loop: Header=BB30_11 Depth=1
	s_ashr_i32 s27, s26, 31
	s_lshl_b64 s[4:5], s[26:27], 2
	s_add_u32 s4, s8, s4
	v_add_u32_e32 v19, s14, v32
	s_addc_u32 s5, s9, s5
	global_store_dword v23, v19, s[4:5]
	s_and_saveexec_b64 s[4:5], s[6:7]
	s_cbranch_execz .LBB30_9
; %bb.43:                               ;   in Loop: Header=BB30_11 Depth=1
	s_mul_i32 s27, s26, s19
	v_add_u32_e32 v19, s27, v17
	v_mad_u64_u32 v[24:25], s[34:35], v19, s19, v[16:17]
	v_mov_b32_e32 v25, v23
	v_lshlrev_b64 v[28:29], 4, v[24:25]
	ds_read2_b64 v[24:27], v30 offset1:1
	v_mov_b32_e32 v19, s11
	v_add_co_u32_e32 v28, vcc, s10, v28
	v_addc_co_u32_e32 v29, vcc, v19, v29, vcc
	s_waitcnt lgkmcnt(0)
	global_store_dwordx4 v[28:29], v[24:27], off
	s_branch .LBB30_9
.LBB30_44:
	s_endpgm
	.section	.rodata,"a",@progbits
	.p2align	6, 0x0
	.amdhsa_kernel _ZN9rocsparseL39bsrgeam_block_per_row_multipass_kernel2ILj256ELj16E21rocsparse_complex_numIdEEEv20rocsparse_direction_iiiNS_24const_host_device_scalarIT1_EEPKiS8_PKS5_S6_S8_S8_SA_S8_PiPS5_21rocsparse_index_base_SD_SD_b
		.amdhsa_group_segment_fixed_size 6152
		.amdhsa_private_segment_fixed_size 16
		.amdhsa_kernarg_size 136
		.amdhsa_user_sgpr_count 10
		.amdhsa_user_sgpr_private_segment_buffer 1
		.amdhsa_user_sgpr_dispatch_ptr 1
		.amdhsa_user_sgpr_queue_ptr 0
		.amdhsa_user_sgpr_kernarg_segment_ptr 1
		.amdhsa_user_sgpr_dispatch_id 0
		.amdhsa_user_sgpr_flat_scratch_init 1
		.amdhsa_user_sgpr_kernarg_preload_length 0
		.amdhsa_user_sgpr_kernarg_preload_offset 0
		.amdhsa_user_sgpr_private_segment_size 0
		.amdhsa_uses_dynamic_stack 0
		.amdhsa_system_sgpr_private_segment_wavefront_offset 1
		.amdhsa_system_sgpr_workgroup_id_x 1
		.amdhsa_system_sgpr_workgroup_id_y 0
		.amdhsa_system_sgpr_workgroup_id_z 0
		.amdhsa_system_sgpr_workgroup_info 0
		.amdhsa_system_vgpr_workitem_id 2
		.amdhsa_next_free_vgpr 42
		.amdhsa_next_free_sgpr 45
		.amdhsa_accum_offset 44
		.amdhsa_reserve_vcc 1
		.amdhsa_reserve_flat_scratch 1
		.amdhsa_float_round_mode_32 0
		.amdhsa_float_round_mode_16_64 0
		.amdhsa_float_denorm_mode_32 3
		.amdhsa_float_denorm_mode_16_64 3
		.amdhsa_dx10_clamp 1
		.amdhsa_ieee_mode 1
		.amdhsa_fp16_overflow 0
		.amdhsa_tg_split 0
		.amdhsa_exception_fp_ieee_invalid_op 0
		.amdhsa_exception_fp_denorm_src 0
		.amdhsa_exception_fp_ieee_div_zero 0
		.amdhsa_exception_fp_ieee_overflow 0
		.amdhsa_exception_fp_ieee_underflow 0
		.amdhsa_exception_fp_ieee_inexact 0
		.amdhsa_exception_int_div_zero 0
	.end_amdhsa_kernel
	.section	.text._ZN9rocsparseL39bsrgeam_block_per_row_multipass_kernel2ILj256ELj16E21rocsparse_complex_numIdEEEv20rocsparse_direction_iiiNS_24const_host_device_scalarIT1_EEPKiS8_PKS5_S6_S8_S8_SA_S8_PiPS5_21rocsparse_index_base_SD_SD_b,"axG",@progbits,_ZN9rocsparseL39bsrgeam_block_per_row_multipass_kernel2ILj256ELj16E21rocsparse_complex_numIdEEEv20rocsparse_direction_iiiNS_24const_host_device_scalarIT1_EEPKiS8_PKS5_S6_S8_S8_SA_S8_PiPS5_21rocsparse_index_base_SD_SD_b,comdat
.Lfunc_end30:
	.size	_ZN9rocsparseL39bsrgeam_block_per_row_multipass_kernel2ILj256ELj16E21rocsparse_complex_numIdEEEv20rocsparse_direction_iiiNS_24const_host_device_scalarIT1_EEPKiS8_PKS5_S6_S8_S8_SA_S8_PiPS5_21rocsparse_index_base_SD_SD_b, .Lfunc_end30-_ZN9rocsparseL39bsrgeam_block_per_row_multipass_kernel2ILj256ELj16E21rocsparse_complex_numIdEEEv20rocsparse_direction_iiiNS_24const_host_device_scalarIT1_EEPKiS8_PKS5_S6_S8_S8_SA_S8_PiPS5_21rocsparse_index_base_SD_SD_b
                                        ; -- End function
	.section	.AMDGPU.csdata,"",@progbits
; Kernel info:
; codeLenInByte = 1724
; NumSgprs: 51
; NumVgprs: 42
; NumAgprs: 0
; TotalNumVgprs: 42
; ScratchSize: 16
; MemoryBound: 0
; FloatMode: 240
; IeeeMode: 1
; LDSByteSize: 6152 bytes/workgroup (compile time only)
; SGPRBlocks: 6
; VGPRBlocks: 5
; NumSGPRsForWavesPerEU: 51
; NumVGPRsForWavesPerEU: 42
; AccumOffset: 44
; Occupancy: 8
; WaveLimiterHint : 1
; COMPUTE_PGM_RSRC2:SCRATCH_EN: 1
; COMPUTE_PGM_RSRC2:USER_SGPR: 10
; COMPUTE_PGM_RSRC2:TRAP_HANDLER: 0
; COMPUTE_PGM_RSRC2:TGID_X_EN: 1
; COMPUTE_PGM_RSRC2:TGID_Y_EN: 0
; COMPUTE_PGM_RSRC2:TGID_Z_EN: 0
; COMPUTE_PGM_RSRC2:TIDIG_COMP_CNT: 2
; COMPUTE_PGM_RSRC3_GFX90A:ACCUM_OFFSET: 10
; COMPUTE_PGM_RSRC3_GFX90A:TG_SPLIT: 0
	.section	.text._ZN9rocsparseL39bsrgeam_block_per_row_multipass_kernel2ILj256ELj32E21rocsparse_complex_numIdEEEv20rocsparse_direction_iiiNS_24const_host_device_scalarIT1_EEPKiS8_PKS5_S6_S8_S8_SA_S8_PiPS5_21rocsparse_index_base_SD_SD_b,"axG",@progbits,_ZN9rocsparseL39bsrgeam_block_per_row_multipass_kernel2ILj256ELj32E21rocsparse_complex_numIdEEEv20rocsparse_direction_iiiNS_24const_host_device_scalarIT1_EEPKiS8_PKS5_S6_S8_S8_SA_S8_PiPS5_21rocsparse_index_base_SD_SD_b,comdat
	.globl	_ZN9rocsparseL39bsrgeam_block_per_row_multipass_kernel2ILj256ELj32E21rocsparse_complex_numIdEEEv20rocsparse_direction_iiiNS_24const_host_device_scalarIT1_EEPKiS8_PKS5_S6_S8_S8_SA_S8_PiPS5_21rocsparse_index_base_SD_SD_b ; -- Begin function _ZN9rocsparseL39bsrgeam_block_per_row_multipass_kernel2ILj256ELj32E21rocsparse_complex_numIdEEEv20rocsparse_direction_iiiNS_24const_host_device_scalarIT1_EEPKiS8_PKS5_S6_S8_S8_SA_S8_PiPS5_21rocsparse_index_base_SD_SD_b
	.p2align	8
	.type	_ZN9rocsparseL39bsrgeam_block_per_row_multipass_kernel2ILj256ELj32E21rocsparse_complex_numIdEEEv20rocsparse_direction_iiiNS_24const_host_device_scalarIT1_EEPKiS8_PKS5_S6_S8_S8_SA_S8_PiPS5_21rocsparse_index_base_SD_SD_b,@function
_ZN9rocsparseL39bsrgeam_block_per_row_multipass_kernel2ILj256ELj32E21rocsparse_complex_numIdEEEv20rocsparse_direction_iiiNS_24const_host_device_scalarIT1_EEPKiS8_PKS5_S6_S8_S8_SA_S8_PiPS5_21rocsparse_index_base_SD_SD_b: ; @_ZN9rocsparseL39bsrgeam_block_per_row_multipass_kernel2ILj256ELj32E21rocsparse_complex_numIdEEEv20rocsparse_direction_iiiNS_24const_host_device_scalarIT1_EEPKiS8_PKS5_S6_S8_S8_SA_S8_PiPS5_21rocsparse_index_base_SD_SD_b
; %bb.0:
	s_load_dwordx2 s[4:5], s[4:5], 0x4
	s_nop 0
	s_load_dwordx4 s[12:15], s[6:7], 0x78
	s_load_dwordx4 s[20:23], s[6:7], 0x10
	s_load_dwordx2 s[24:25], s[6:7], 0x20
	s_load_dwordx4 s[16:19], s[6:7], 0x38
	s_load_dwordx2 s[10:11], s[6:7], 0x48
	s_waitcnt lgkmcnt(0)
	s_bitcmp1_b32 s15, 0
	s_cselect_b64 s[0:1], -1, 0
	s_mov_b64 s[2:3], src_shared_base
	s_and_b64 vcc, s[0:1], exec
	s_cselect_b32 s2, s3, s21
	s_lshr_b32 s4, s4, 16
	v_and_b32_e32 v1, 0x3ff, v0
	s_mul_i32 s4, s4, s5
	v_mul_lo_u32 v2, s4, v1
	v_bfe_u32 v3, v0, 10, 10
	v_mad_u32_u24 v2, v3, s5, v2
	v_bfe_u32 v0, v0, 20, 10
	v_add_lshl_u32 v0, v2, v0, 3
	v_mov_b32_e32 v6, s20
	v_add_u32_e32 v7, 0x4808, v0
	v_pk_mov_b32 v[2:3], s[20:21], s[20:21] op_sel:[0,1]
	v_pk_mov_b32 v[4:5], s[16:17], s[16:17] op_sel:[0,1]
	v_add_u32_e32 v8, 8, v0
	ds_write2st64_b64 v8, v[4:5], v[2:3] offset0:32 offset1:36
	v_cndmask_b32_e64 v2, v6, v7, s[0:1]
	v_mov_b32_e32 v3, s2
	flat_load_dwordx2 v[4:5], v[2:3]
	s_load_dwordx2 s[26:27], s[6:7], 0x60
	s_xor_b64 s[4:5], s[0:1], -1
	v_add_u32_e32 v0, 0x4008, v0
	v_pk_mov_b32 v[6:7], s[22:23], s[22:23] op_sel:[0,1]
	s_cbranch_vccnz .LBB31_2
; %bb.1:
	v_pk_mov_b32 v[2:3], s[20:21], s[20:21] op_sel:[0,1]
	flat_load_dwordx2 v[6:7], v[2:3] offset:8
.LBB31_2:
	s_and_b64 s[20:21], s[0:1], exec
	s_cselect_b32 s2, s3, s17
	v_mov_b32_e32 v2, s16
	v_cndmask_b32_e64 v2, v2, v0, s[0:1]
	v_mov_b32_e32 v3, s2
	flat_load_dwordx2 v[8:9], v[2:3]
	s_load_dwordx2 s[2:3], s[6:7], 0x28
	s_andn2_b64 vcc, exec, s[4:5]
	v_pk_mov_b32 v[10:11], s[18:19], s[18:19] op_sel:[0,1]
	s_cbranch_vccnz .LBB31_4
; %bb.3:
	v_pk_mov_b32 v[2:3], s[16:17], s[16:17] op_sel:[0,1]
	flat_load_dwordx2 v[10:11], v[2:3] offset:8
.LBB31_4:
	s_ashr_i32 s9, s8, 31
	s_lshl_b64 s[8:9], s[8:9], 2
	s_add_u32 s18, s24, s8
	s_addc_u32 s19, s25, s9
	s_load_dwordx2 s[0:1], s[18:19], 0x0
	s_load_dwordx2 s[4:5], s[6:7], 0x50
	;; [unrolled: 1-line block ×3, first 2 shown]
	s_waitcnt lgkmcnt(0)
	s_sub_i32 s18, s0, s12
	s_add_u32 s10, s10, s8
	s_addc_u32 s11, s11, s9
	s_load_dwordx2 s[28:29], s[10:11], 0x0
	s_add_u32 s24, s26, s8
	s_addc_u32 s25, s27, s9
	s_cmp_ge_i32 s0, s1
	s_mov_b32 s0, s16
	s_cbranch_scc1 .LBB31_6
; %bb.5:
	s_ashr_i32 s19, s18, 31
	s_lshl_b64 s[8:9], s[18:19], 2
	s_add_u32 s8, s2, s8
	s_addc_u32 s9, s3, s9
	s_load_dword s0, s[8:9], 0x0
	s_waitcnt lgkmcnt(0)
	s_sub_i32 s0, s0, s12
.LBB31_6:
	s_load_dwordx4 s[8:11], s[6:7], 0x68
	s_load_dwordx2 s[20:21], s[6:7], 0x58
	s_load_dwordx2 s[22:23], s[6:7], 0x30
	s_load_dword s19, s[24:25], 0x0
	s_waitcnt lgkmcnt(0)
	s_sub_i32 s24, s28, s13
	s_cmp_ge_i32 s28, s29
	s_mov_b32 s25, s16
	s_cbranch_scc1 .LBB31_8
; %bb.7:
	s_ashr_i32 s25, s24, 31
	s_lshl_b64 s[26:27], s[24:25], 2
	s_add_u32 s26, s4, s26
	s_addc_u32 s27, s5, s27
	s_load_dword s15, s[26:27], 0x0
	s_waitcnt lgkmcnt(0)
	s_sub_i32 s25, s15, s13
.LBB31_8:
	s_sub_i32 s15, s1, s12
	s_load_dword s1, s[6:7], 0x0
	v_and_b32_e32 v13, 7, v1
	v_lshrrev_b32_e32 v12, 3, v1
	s_sub_i32 s33, s29, s13
	s_sub_i32 s26, s19, s14
	s_min_i32 s27, s25, s0
	v_cmp_gt_i32_e32 vcc, s17, v12
	s_waitcnt lgkmcnt(0)
	s_cmp_lg_u32 s1, 0
	v_cmp_gt_u32_e64 s[0:1], s17, v13
	v_or_b32_e32 v19, 8, v13
	s_mov_b32 s40, 0
	s_cselect_b64 s[6:7], -1, 0
	s_and_b64 s[28:29], vcc, s[0:1]
	v_cmp_gt_u32_e64 s[0:1], s17, v19
	v_or_b32_e32 v22, 16, v13
	v_lshlrev_b32_e32 v0, 5, v12
	s_and_b64 s[30:31], vcc, s[0:1]
	v_cmp_gt_u32_e64 s[0:1], s17, v22
	v_or_b32_e32 v25, 24, v13
	s_mov_b32 s41, s40
	v_or_b32_e32 v16, v0, v13
	v_or_b32_e32 v21, v19, v0
	s_and_b64 s[34:35], vcc, s[0:1]
	v_or_b32_e32 v24, v22, v0
	v_cmp_gt_u32_e64 s[0:1], s17, v25
	v_or_b32_e32 v27, v25, v0
	s_mov_b32 s42, s40
	s_mov_b32 s43, s40
	v_pk_mov_b32 v[0:1], s[40:41], s[40:41] op_sel:[0,1]
	v_cndmask_b32_e64 v14, 0, 1, s[6:7]
	v_lshlrev_b32_e32 v17, 4, v16
	v_lshl_or_b32 v18, v13, 5, v12
	v_lshl_or_b32 v20, v19, 5, v12
	v_lshl_or_b32 v23, v22, 5, v12
	s_and_b64 s[36:37], vcc, s[0:1]
	v_lshl_or_b32 v26, v25, 5, v12
	s_mul_i32 s46, s17, s17
	v_mov_b32_e32 v15, 0
	v_pk_mov_b32 v[2:3], s[42:43], s[42:43] op_sel:[0,1]
	v_mov_b32_e32 v28, 1
	v_cmp_ne_u32_e64 s[0:1], 1, v14
	s_branch .LBB31_12
.LBB31_9:                               ;   in Loop: Header=BB31_12 Depth=1
	v_lshlrev_b32_e32 v29, 4, v30
	ds_read2_b64 v[30:33], v29 offset1:1
	v_lshlrev_b64 v[34:35], 4, v[14:15]
	v_mov_b32_e32 v14, s11
	v_add_co_u32_e32 v34, vcc, s10, v34
	v_addc_co_u32_e32 v35, vcc, v14, v35, vcc
	s_waitcnt lgkmcnt(0)
	global_store_dwordx4 v[34:35], v[30:33], off
.LBB31_10:                              ;   in Loop: Header=BB31_12 Depth=1
	s_or_b64 exec, exec, s[38:39]
.LBB31_11:                              ;   in Loop: Header=BB31_12 Depth=1
	s_barrier
	ds_read_b32 v14, v15 offset:16384
	s_mov_b32 s27, s25
	s_waitcnt lgkmcnt(0)
	s_barrier
	v_readfirstlane_b32 s19, v14
	s_add_i32 s26, s19, s26
	s_cmp_lt_i32 s25, s16
	s_cbranch_scc0 .LBB31_104
.LBB31_12:                              ; =>This Loop Header: Depth=1
                                        ;     Child Loop BB31_15 Depth 2
                                        ;     Child Loop BB31_49 Depth 2
	s_cmp_ge_i32 s18, s15
	ds_write_b32 v15, v15 offset:16384
	ds_write_b128 v17, v[0:3]
	ds_write_b128 v17, v[0:3] offset:128
	ds_write_b128 v17, v[0:3] offset:256
	;; [unrolled: 1-line block ×3, first 2 shown]
	s_waitcnt lgkmcnt(0)
	s_barrier
	s_cbranch_scc1 .LBB31_45
; %bb.13:                               ;   in Loop: Header=BB31_12 Depth=1
	s_mul_i32 s19, s17, s18
	v_add_u32_e32 v14, s19, v13
	v_mul_lo_u32 v29, s17, v14
	v_add_u32_e32 v14, s19, v19
	v_mul_lo_u32 v30, s17, v14
	;; [unrolled: 2-line block ×3, first 2 shown]
	v_add_u32_e32 v14, s19, v25
	s_ashr_i32 s19, s18, 31
	s_lshl_b64 s[38:39], s[18:19], 2
	s_add_u32 s38, s2, s38
	v_mul_lo_u32 v32, s17, v14
	s_addc_u32 s39, s3, s39
	v_mov_b32_e32 v33, v12
	s_mov_b32 s25, s16
	s_branch .LBB31_15
.LBB31_14:                              ;   in Loop: Header=BB31_15 Depth=2
	s_add_i32 s18, s18, 1
	s_add_u32 s38, s38, 4
	s_addc_u32 s39, s39, 0
	s_cmp_ge_i32 s18, s15
	v_add_u32_e32 v33, s46, v33
	s_cselect_b64 s[40:41], -1, 0
	s_andn2_b64 vcc, exec, s[40:41]
	s_mov_b32 s25, s19
	s_cbranch_vccz .LBB31_46
.LBB31_15:                              ;   Parent Loop BB31_12 Depth=1
                                        ; =>  This Inner Loop Header: Depth=2
	s_load_dword s19, s[38:39], 0x0
	s_mov_b64 s[42:43], -1
	s_waitcnt lgkmcnt(0)
	s_sub_i32 s44, s19, s12
	s_cmp_eq_u32 s44, s27
	s_cselect_b64 s[40:41], -1, 0
	s_cmp_lg_u32 s44, s27
                                        ; implicit-def: $sgpr19
	s_cbranch_scc1 .LBB31_18
; %bb.16:                               ;   in Loop: Header=BB31_15 Depth=2
	s_andn2_b64 vcc, exec, s[42:43]
	s_cbranch_vccz .LBB31_19
.LBB31_17:                              ;   in Loop: Header=BB31_15 Depth=2
	s_andn2_b64 vcc, exec, s[40:41]
	s_cbranch_vccz .LBB31_14
	s_branch .LBB31_40
.LBB31_18:                              ;   in Loop: Header=BB31_15 Depth=2
	s_min_i32 s19, s44, s25
	s_cbranch_execnz .LBB31_17
.LBB31_19:                              ;   in Loop: Header=BB31_15 Depth=2
	s_mul_i32 s19, s18, s17
	v_add_u32_e32 v14, s19, v12
	v_mul_lo_u32 v34, v14, s17
	ds_write_b32 v15, v28 offset:16384
	s_and_saveexec_b64 s[42:43], s[28:29]
	s_cbranch_execnz .LBB31_23
; %bb.20:                               ;   in Loop: Header=BB31_15 Depth=2
	s_or_b64 exec, exec, s[42:43]
	s_and_saveexec_b64 s[42:43], s[30:31]
	s_cbranch_execnz .LBB31_27
.LBB31_21:                              ;   in Loop: Header=BB31_15 Depth=2
	s_or_b64 exec, exec, s[42:43]
	s_and_saveexec_b64 s[42:43], s[34:35]
	s_cbranch_execnz .LBB31_31
.LBB31_22:                              ;   in Loop: Header=BB31_15 Depth=2
	s_or_b64 exec, exec, s[42:43]
	s_and_saveexec_b64 s[42:43], s[36:37]
	s_cbranch_execnz .LBB31_35
	s_branch .LBB31_39
.LBB31_23:                              ;   in Loop: Header=BB31_15 Depth=2
	s_and_b64 vcc, exec, s[6:7]
	s_cbranch_vccz .LBB31_41
; %bb.24:                               ;   in Loop: Header=BB31_15 Depth=2
	v_add_u32_e32 v14, v29, v33
	v_mov_b32_e32 v35, v18
	s_cbranch_execnz .LBB31_26
.LBB31_25:                              ;   in Loop: Header=BB31_15 Depth=2
	v_add_u32_e32 v14, v34, v13
	v_mov_b32_e32 v35, v16
.LBB31_26:                              ;   in Loop: Header=BB31_15 Depth=2
	v_lshlrev_b64 v[36:37], 4, v[14:15]
	v_mov_b32_e32 v14, s23
	v_add_co_u32_e32 v36, vcc, s22, v36
	v_addc_co_u32_e32 v37, vcc, v14, v37, vcc
	global_load_dwordx4 v[36:39], v[36:37], off
	v_lshlrev_b32_e32 v14, 4, v35
	s_waitcnt vmcnt(0)
	v_mul_f64 v[40:41], v[38:39], -v[6:7]
	v_mul_f64 v[42:43], v[4:5], v[38:39]
	v_fmac_f64_e32 v[40:41], v[4:5], v[36:37]
	v_fmac_f64_e32 v[42:43], v[6:7], v[36:37]
	ds_write_b128 v14, v[40:43]
	s_or_b64 exec, exec, s[42:43]
	s_and_saveexec_b64 s[42:43], s[30:31]
	s_cbranch_execz .LBB31_21
.LBB31_27:                              ;   in Loop: Header=BB31_15 Depth=2
	s_and_b64 vcc, exec, s[0:1]
	s_cbranch_vccnz .LBB31_42
; %bb.28:                               ;   in Loop: Header=BB31_15 Depth=2
	v_add_u32_e32 v14, v30, v33
	v_mov_b32_e32 v35, v20
	s_cbranch_execnz .LBB31_30
.LBB31_29:                              ;   in Loop: Header=BB31_15 Depth=2
	v_add_u32_e32 v14, v34, v19
	v_mov_b32_e32 v35, v21
.LBB31_30:                              ;   in Loop: Header=BB31_15 Depth=2
	v_lshlrev_b64 v[36:37], 4, v[14:15]
	v_mov_b32_e32 v14, s23
	v_add_co_u32_e32 v36, vcc, s22, v36
	v_addc_co_u32_e32 v37, vcc, v14, v37, vcc
	global_load_dwordx4 v[36:39], v[36:37], off
	v_lshlrev_b32_e32 v14, 4, v35
	s_waitcnt vmcnt(0)
	v_mul_f64 v[40:41], v[38:39], -v[6:7]
	v_mul_f64 v[42:43], v[4:5], v[38:39]
	v_fmac_f64_e32 v[40:41], v[4:5], v[36:37]
	v_fmac_f64_e32 v[42:43], v[6:7], v[36:37]
	ds_write_b128 v14, v[40:43]
	s_or_b64 exec, exec, s[42:43]
	s_and_saveexec_b64 s[42:43], s[34:35]
	s_cbranch_execz .LBB31_22
.LBB31_31:                              ;   in Loop: Header=BB31_15 Depth=2
	s_and_b64 vcc, exec, s[0:1]
	s_cbranch_vccnz .LBB31_43
; %bb.32:                               ;   in Loop: Header=BB31_15 Depth=2
	v_add_u32_e32 v14, v31, v33
	v_mov_b32_e32 v35, v23
	s_cbranch_execnz .LBB31_34
.LBB31_33:                              ;   in Loop: Header=BB31_15 Depth=2
	v_add_u32_e32 v14, v34, v22
	v_mov_b32_e32 v35, v24
.LBB31_34:                              ;   in Loop: Header=BB31_15 Depth=2
	v_lshlrev_b64 v[36:37], 4, v[14:15]
	v_mov_b32_e32 v14, s23
	v_add_co_u32_e32 v36, vcc, s22, v36
	v_addc_co_u32_e32 v37, vcc, v14, v37, vcc
	global_load_dwordx4 v[36:39], v[36:37], off
	v_lshlrev_b32_e32 v14, 4, v35
	s_waitcnt vmcnt(0)
	v_mul_f64 v[40:41], v[38:39], -v[6:7]
	v_mul_f64 v[42:43], v[4:5], v[38:39]
	v_fmac_f64_e32 v[40:41], v[4:5], v[36:37]
	v_fmac_f64_e32 v[42:43], v[6:7], v[36:37]
	ds_write_b128 v14, v[40:43]
	s_or_b64 exec, exec, s[42:43]
	s_and_saveexec_b64 s[42:43], s[36:37]
	s_cbranch_execz .LBB31_39
.LBB31_35:                              ;   in Loop: Header=BB31_15 Depth=2
	s_and_b64 vcc, exec, s[0:1]
	s_cbranch_vccnz .LBB31_44
; %bb.36:                               ;   in Loop: Header=BB31_15 Depth=2
	v_add_u32_e32 v14, v32, v33
	v_mov_b32_e32 v35, v26
	s_cbranch_execnz .LBB31_38
.LBB31_37:                              ;   in Loop: Header=BB31_15 Depth=2
	v_add_u32_e32 v14, v34, v25
	v_mov_b32_e32 v35, v27
.LBB31_38:                              ;   in Loop: Header=BB31_15 Depth=2
	v_lshlrev_b64 v[36:37], 4, v[14:15]
	v_mov_b32_e32 v14, s23
	v_add_co_u32_e32 v36, vcc, s22, v36
	v_addc_co_u32_e32 v37, vcc, v14, v37, vcc
	global_load_dwordx4 v[36:39], v[36:37], off
	v_lshlrev_b32_e32 v14, 4, v35
	s_waitcnt vmcnt(0)
	v_mul_f64 v[40:41], v[38:39], -v[6:7]
	v_mul_f64 v[42:43], v[4:5], v[38:39]
	v_fmac_f64_e32 v[40:41], v[4:5], v[36:37]
	v_fmac_f64_e32 v[42:43], v[6:7], v[36:37]
	ds_write_b128 v14, v[40:43]
.LBB31_39:                              ;   in Loop: Header=BB31_15 Depth=2
	s_or_b64 exec, exec, s[42:43]
	s_mov_b32 s19, s25
	s_andn2_b64 vcc, exec, s[40:41]
	s_cbranch_vccz .LBB31_14
.LBB31_40:                              ;   in Loop: Header=BB31_12 Depth=1
                                        ; implicit-def: $vgpr33
                                        ; implicit-def: $sgpr38_sgpr39
	s_mov_b32 s25, s19
	s_branch .LBB31_46
.LBB31_41:                              ;   in Loop: Header=BB31_15 Depth=2
	v_mov_b32_e32 v35, v18
	s_branch .LBB31_25
.LBB31_42:                              ;   in Loop: Header=BB31_15 Depth=2
	v_mov_b32_e32 v35, v20
	s_branch .LBB31_29
.LBB31_43:                              ;   in Loop: Header=BB31_15 Depth=2
	v_mov_b32_e32 v35, v23
	s_branch .LBB31_33
.LBB31_44:                              ;   in Loop: Header=BB31_15 Depth=2
	v_mov_b32_e32 v35, v26
	s_branch .LBB31_37
.LBB31_45:                              ;   in Loop: Header=BB31_12 Depth=1
	s_mov_b32 s19, s16
.LBB31_46:                              ;   in Loop: Header=BB31_12 Depth=1
	s_cmp_ge_i32 s24, s33
	s_waitcnt lgkmcnt(0)
	s_barrier
	s_cbranch_scc1 .LBB31_79
; %bb.47:                               ;   in Loop: Header=BB31_12 Depth=1
	s_mul_i32 s25, s17, s24
	v_add_u32_e32 v14, s25, v13
	v_mul_lo_u32 v29, s17, v14
	v_add_u32_e32 v14, s25, v19
	v_mul_lo_u32 v30, s17, v14
	;; [unrolled: 2-line block ×3, first 2 shown]
	v_add_u32_e32 v14, s25, v25
	s_ashr_i32 s25, s24, 31
	s_lshl_b64 s[38:39], s[24:25], 2
	s_add_u32 s38, s4, s38
	v_mul_lo_u32 v32, s17, v14
	s_addc_u32 s39, s5, s39
	v_mov_b32_e32 v33, v12
	s_branch .LBB31_49
.LBB31_48:                              ;   in Loop: Header=BB31_49 Depth=2
	s_add_i32 s24, s24, 1
	s_add_u32 s38, s38, 4
	s_addc_u32 s39, s39, 0
	s_cmp_ge_i32 s24, s33
	v_add_u32_e32 v33, s46, v33
	s_cselect_b64 s[40:41], -1, 0
	s_andn2_b64 vcc, exec, s[40:41]
	s_mov_b32 s19, s25
	s_cbranch_vccz .LBB31_80
.LBB31_49:                              ;   Parent Loop BB31_12 Depth=1
                                        ; =>  This Inner Loop Header: Depth=2
	s_load_dword s25, s[38:39], 0x0
	s_mov_b64 s[42:43], -1
	s_waitcnt lgkmcnt(0)
	s_sub_i32 s44, s25, s13
	s_cmp_eq_u32 s44, s27
	s_cselect_b64 s[40:41], -1, 0
	s_cmp_lg_u32 s44, s27
                                        ; implicit-def: $sgpr25
	s_cbranch_scc1 .LBB31_52
; %bb.50:                               ;   in Loop: Header=BB31_49 Depth=2
	s_andn2_b64 vcc, exec, s[42:43]
	s_cbranch_vccz .LBB31_53
.LBB31_51:                              ;   in Loop: Header=BB31_49 Depth=2
	s_andn2_b64 vcc, exec, s[40:41]
	s_cbranch_vccz .LBB31_48
	s_branch .LBB31_74
.LBB31_52:                              ;   in Loop: Header=BB31_49 Depth=2
	s_min_i32 s25, s44, s19
	s_cbranch_execnz .LBB31_51
.LBB31_53:                              ;   in Loop: Header=BB31_49 Depth=2
	s_mul_i32 s25, s24, s17
	v_add_u32_e32 v14, s25, v12
	v_mul_lo_u32 v34, v14, s17
	ds_write_b32 v15, v28 offset:16384
	s_and_saveexec_b64 s[42:43], s[28:29]
	s_cbranch_execnz .LBB31_57
; %bb.54:                               ;   in Loop: Header=BB31_49 Depth=2
	s_or_b64 exec, exec, s[42:43]
	s_and_saveexec_b64 s[42:43], s[30:31]
	s_cbranch_execnz .LBB31_61
.LBB31_55:                              ;   in Loop: Header=BB31_49 Depth=2
	s_or_b64 exec, exec, s[42:43]
	s_and_saveexec_b64 s[42:43], s[34:35]
	s_cbranch_execnz .LBB31_65
.LBB31_56:                              ;   in Loop: Header=BB31_49 Depth=2
	s_or_b64 exec, exec, s[42:43]
	s_and_saveexec_b64 s[42:43], s[36:37]
	s_cbranch_execnz .LBB31_69
	s_branch .LBB31_73
.LBB31_57:                              ;   in Loop: Header=BB31_49 Depth=2
	s_and_b64 vcc, exec, s[6:7]
	s_cbranch_vccz .LBB31_75
; %bb.58:                               ;   in Loop: Header=BB31_49 Depth=2
	v_add_u32_e32 v14, v29, v33
	v_mov_b32_e32 v35, v18
	s_cbranch_execnz .LBB31_60
.LBB31_59:                              ;   in Loop: Header=BB31_49 Depth=2
	v_add_u32_e32 v14, v34, v13
	v_mov_b32_e32 v35, v16
.LBB31_60:                              ;   in Loop: Header=BB31_49 Depth=2
	v_lshlrev_b64 v[36:37], 4, v[14:15]
	v_mov_b32_e32 v14, s21
	v_add_co_u32_e32 v36, vcc, s20, v36
	v_addc_co_u32_e32 v37, vcc, v14, v37, vcc
	global_load_dwordx4 v[36:39], v[36:37], off
	v_lshlrev_b32_e32 v14, 4, v35
	ds_read_b128 v[40:43], v14
	s_waitcnt vmcnt(0) lgkmcnt(0)
	v_fmac_f64_e32 v[40:41], v[8:9], v[36:37]
	v_fmac_f64_e32 v[42:43], v[10:11], v[36:37]
	v_fma_f64 v[40:41], -v[10:11], v[38:39], v[40:41]
	v_fmac_f64_e32 v[42:43], v[8:9], v[38:39]
	ds_write_b128 v14, v[40:43]
	s_or_b64 exec, exec, s[42:43]
	s_and_saveexec_b64 s[42:43], s[30:31]
	s_cbranch_execz .LBB31_55
.LBB31_61:                              ;   in Loop: Header=BB31_49 Depth=2
	s_and_b64 vcc, exec, s[0:1]
	s_cbranch_vccnz .LBB31_76
; %bb.62:                               ;   in Loop: Header=BB31_49 Depth=2
	v_add_u32_e32 v14, v30, v33
	v_mov_b32_e32 v35, v20
	s_cbranch_execnz .LBB31_64
.LBB31_63:                              ;   in Loop: Header=BB31_49 Depth=2
	v_add_u32_e32 v14, v34, v19
	v_mov_b32_e32 v35, v21
.LBB31_64:                              ;   in Loop: Header=BB31_49 Depth=2
	v_lshlrev_b64 v[36:37], 4, v[14:15]
	v_mov_b32_e32 v14, s21
	v_add_co_u32_e32 v36, vcc, s20, v36
	v_addc_co_u32_e32 v37, vcc, v14, v37, vcc
	global_load_dwordx4 v[36:39], v[36:37], off
	v_lshlrev_b32_e32 v14, 4, v35
	ds_read_b128 v[40:43], v14
	s_waitcnt vmcnt(0) lgkmcnt(0)
	v_fmac_f64_e32 v[40:41], v[8:9], v[36:37]
	v_fmac_f64_e32 v[42:43], v[10:11], v[36:37]
	v_fma_f64 v[40:41], -v[10:11], v[38:39], v[40:41]
	v_fmac_f64_e32 v[42:43], v[8:9], v[38:39]
	ds_write_b128 v14, v[40:43]
	s_or_b64 exec, exec, s[42:43]
	s_and_saveexec_b64 s[42:43], s[34:35]
	s_cbranch_execz .LBB31_56
.LBB31_65:                              ;   in Loop: Header=BB31_49 Depth=2
	s_and_b64 vcc, exec, s[0:1]
	s_cbranch_vccnz .LBB31_77
; %bb.66:                               ;   in Loop: Header=BB31_49 Depth=2
	v_add_u32_e32 v14, v31, v33
	v_mov_b32_e32 v35, v23
	s_cbranch_execnz .LBB31_68
.LBB31_67:                              ;   in Loop: Header=BB31_49 Depth=2
	v_add_u32_e32 v14, v34, v22
	v_mov_b32_e32 v35, v24
.LBB31_68:                              ;   in Loop: Header=BB31_49 Depth=2
	v_lshlrev_b64 v[36:37], 4, v[14:15]
	v_mov_b32_e32 v14, s21
	v_add_co_u32_e32 v36, vcc, s20, v36
	v_addc_co_u32_e32 v37, vcc, v14, v37, vcc
	global_load_dwordx4 v[36:39], v[36:37], off
	v_lshlrev_b32_e32 v14, 4, v35
	ds_read_b128 v[40:43], v14
	s_waitcnt vmcnt(0) lgkmcnt(0)
	v_fmac_f64_e32 v[40:41], v[8:9], v[36:37]
	v_fmac_f64_e32 v[42:43], v[10:11], v[36:37]
	v_fma_f64 v[40:41], -v[10:11], v[38:39], v[40:41]
	v_fmac_f64_e32 v[42:43], v[8:9], v[38:39]
	ds_write_b128 v14, v[40:43]
	s_or_b64 exec, exec, s[42:43]
	s_and_saveexec_b64 s[42:43], s[36:37]
	s_cbranch_execz .LBB31_73
.LBB31_69:                              ;   in Loop: Header=BB31_49 Depth=2
	s_and_b64 vcc, exec, s[0:1]
	s_cbranch_vccnz .LBB31_78
; %bb.70:                               ;   in Loop: Header=BB31_49 Depth=2
	v_add_u32_e32 v14, v32, v33
	v_mov_b32_e32 v35, v26
	s_cbranch_execnz .LBB31_72
.LBB31_71:                              ;   in Loop: Header=BB31_49 Depth=2
	v_add_u32_e32 v14, v34, v25
	v_mov_b32_e32 v35, v27
.LBB31_72:                              ;   in Loop: Header=BB31_49 Depth=2
	v_lshlrev_b64 v[36:37], 4, v[14:15]
	v_mov_b32_e32 v14, s21
	v_add_co_u32_e32 v36, vcc, s20, v36
	v_addc_co_u32_e32 v37, vcc, v14, v37, vcc
	global_load_dwordx4 v[36:39], v[36:37], off
	v_lshlrev_b32_e32 v14, 4, v35
	ds_read_b128 v[40:43], v14
	s_waitcnt vmcnt(0) lgkmcnt(0)
	v_fmac_f64_e32 v[40:41], v[8:9], v[36:37]
	v_fmac_f64_e32 v[42:43], v[10:11], v[36:37]
	v_fma_f64 v[40:41], -v[10:11], v[38:39], v[40:41]
	v_fmac_f64_e32 v[42:43], v[8:9], v[38:39]
	ds_write_b128 v14, v[40:43]
.LBB31_73:                              ;   in Loop: Header=BB31_49 Depth=2
	s_or_b64 exec, exec, s[42:43]
	s_mov_b32 s25, s19
	s_andn2_b64 vcc, exec, s[40:41]
	s_cbranch_vccz .LBB31_48
.LBB31_74:                              ;   in Loop: Header=BB31_12 Depth=1
                                        ; implicit-def: $vgpr33
                                        ; implicit-def: $sgpr38_sgpr39
	s_mov_b32 s19, s25
	s_branch .LBB31_80
.LBB31_75:                              ;   in Loop: Header=BB31_49 Depth=2
	v_mov_b32_e32 v35, v18
	s_branch .LBB31_59
.LBB31_76:                              ;   in Loop: Header=BB31_49 Depth=2
	v_mov_b32_e32 v35, v20
	s_branch .LBB31_63
.LBB31_77:                              ;   in Loop: Header=BB31_49 Depth=2
	v_mov_b32_e32 v35, v23
	s_branch .LBB31_67
.LBB31_78:                              ;   in Loop: Header=BB31_49 Depth=2
	v_mov_b32_e32 v35, v26
	s_branch .LBB31_71
.LBB31_79:                              ;   in Loop: Header=BB31_12 Depth=1
	s_mov_b32 s25, s19
.LBB31_80:                              ;   in Loop: Header=BB31_12 Depth=1
	s_waitcnt lgkmcnt(0)
	s_barrier
	ds_read_b32 v14, v15 offset:16384
	s_waitcnt lgkmcnt(0)
	v_cmp_eq_u32_e32 vcc, 0, v14
	s_cbranch_vccnz .LBB31_11
; %bb.81:                               ;   in Loop: Header=BB31_12 Depth=1
	s_add_i32 s19, s27, s14
	s_ashr_i32 s27, s26, 31
	s_lshl_b64 s[38:39], s[26:27], 2
	s_add_u32 s38, s8, s38
	s_addc_u32 s39, s9, s39
	v_mov_b32_e32 v14, s19
	s_mul_i32 s19, s26, s17
	global_store_dword v15, v14, s[38:39]
	v_add_u32_e32 v14, s19, v12
	v_mul_lo_u32 v29, v14, s17
	s_and_saveexec_b64 s[38:39], s[28:29]
	s_cbranch_execnz .LBB31_85
; %bb.82:                               ;   in Loop: Header=BB31_12 Depth=1
	s_or_b64 exec, exec, s[38:39]
	s_and_saveexec_b64 s[38:39], s[30:31]
	s_cbranch_execnz .LBB31_89
.LBB31_83:                              ;   in Loop: Header=BB31_12 Depth=1
	s_or_b64 exec, exec, s[38:39]
	s_and_saveexec_b64 s[38:39], s[34:35]
	s_cbranch_execnz .LBB31_93
.LBB31_84:                              ;   in Loop: Header=BB31_12 Depth=1
	s_or_b64 exec, exec, s[38:39]
	s_and_saveexec_b64 s[38:39], s[36:37]
	s_cbranch_execz .LBB31_10
	s_branch .LBB31_97
.LBB31_85:                              ;   in Loop: Header=BB31_12 Depth=1
	s_and_b64 vcc, exec, s[6:7]
	s_cbranch_vccz .LBB31_99
; %bb.86:                               ;   in Loop: Header=BB31_12 Depth=1
	v_add_u32_e32 v14, s19, v13
	v_mad_u64_u32 v[30:31], s[40:41], v14, s17, v[12:13]
	v_mov_b32_e32 v14, v30
	v_mov_b32_e32 v30, v18
	s_cbranch_execnz .LBB31_88
.LBB31_87:                              ;   in Loop: Header=BB31_12 Depth=1
	v_add_u32_e32 v14, v29, v13
	v_mov_b32_e32 v30, v16
.LBB31_88:                              ;   in Loop: Header=BB31_12 Depth=1
	v_lshlrev_b32_e32 v30, 4, v30
	ds_read2_b64 v[30:33], v30 offset1:1
	v_lshlrev_b64 v[34:35], 4, v[14:15]
	v_mov_b32_e32 v14, s11
	v_add_co_u32_e32 v34, vcc, s10, v34
	v_addc_co_u32_e32 v35, vcc, v14, v35, vcc
	s_waitcnt lgkmcnt(0)
	global_store_dwordx4 v[34:35], v[30:33], off
	s_or_b64 exec, exec, s[38:39]
	s_and_saveexec_b64 s[38:39], s[30:31]
	s_cbranch_execz .LBB31_83
.LBB31_89:                              ;   in Loop: Header=BB31_12 Depth=1
	s_and_b64 vcc, exec, s[0:1]
	s_cbranch_vccnz .LBB31_100
; %bb.90:                               ;   in Loop: Header=BB31_12 Depth=1
	v_add_u32_e32 v14, s19, v19
	v_mad_u64_u32 v[30:31], s[40:41], v14, s17, v[12:13]
	v_mov_b32_e32 v14, v30
	v_mov_b32_e32 v30, v20
	s_cbranch_execnz .LBB31_92
.LBB31_91:                              ;   in Loop: Header=BB31_12 Depth=1
	v_add_u32_e32 v14, v29, v19
	v_mov_b32_e32 v30, v21
.LBB31_92:                              ;   in Loop: Header=BB31_12 Depth=1
	v_lshlrev_b32_e32 v30, 4, v30
	ds_read2_b64 v[30:33], v30 offset1:1
	v_lshlrev_b64 v[34:35], 4, v[14:15]
	v_mov_b32_e32 v14, s11
	v_add_co_u32_e32 v34, vcc, s10, v34
	v_addc_co_u32_e32 v35, vcc, v14, v35, vcc
	s_waitcnt lgkmcnt(0)
	global_store_dwordx4 v[34:35], v[30:33], off
	s_or_b64 exec, exec, s[38:39]
	s_and_saveexec_b64 s[38:39], s[34:35]
	s_cbranch_execz .LBB31_84
.LBB31_93:                              ;   in Loop: Header=BB31_12 Depth=1
	s_and_b64 vcc, exec, s[0:1]
	s_cbranch_vccnz .LBB31_101
; %bb.94:                               ;   in Loop: Header=BB31_12 Depth=1
	v_add_u32_e32 v14, s19, v22
	v_mad_u64_u32 v[30:31], s[40:41], v14, s17, v[12:13]
	v_mov_b32_e32 v14, v30
	v_mov_b32_e32 v30, v23
	s_cbranch_execnz .LBB31_96
.LBB31_95:                              ;   in Loop: Header=BB31_12 Depth=1
	v_add_u32_e32 v14, v29, v22
	v_mov_b32_e32 v30, v24
.LBB31_96:                              ;   in Loop: Header=BB31_12 Depth=1
	v_lshlrev_b32_e32 v30, 4, v30
	ds_read2_b64 v[30:33], v30 offset1:1
	v_lshlrev_b64 v[34:35], 4, v[14:15]
	v_mov_b32_e32 v14, s11
	v_add_co_u32_e32 v34, vcc, s10, v34
	v_addc_co_u32_e32 v35, vcc, v14, v35, vcc
	s_waitcnt lgkmcnt(0)
	global_store_dwordx4 v[34:35], v[30:33], off
	s_or_b64 exec, exec, s[38:39]
	s_and_saveexec_b64 s[38:39], s[36:37]
	s_cbranch_execz .LBB31_10
.LBB31_97:                              ;   in Loop: Header=BB31_12 Depth=1
	s_and_b64 vcc, exec, s[0:1]
	s_cbranch_vccnz .LBB31_102
; %bb.98:                               ;   in Loop: Header=BB31_12 Depth=1
	v_add_u32_e32 v14, s19, v25
	v_mad_u64_u32 v[30:31], s[40:41], v14, s17, v[12:13]
	v_mov_b32_e32 v14, v30
	v_mov_b32_e32 v30, v26
	s_cbranch_execnz .LBB31_9
	s_branch .LBB31_103
.LBB31_99:                              ;   in Loop: Header=BB31_12 Depth=1
	v_mov_b32_e32 v30, v18
	s_branch .LBB31_87
.LBB31_100:                             ;   in Loop: Header=BB31_12 Depth=1
	v_mov_b32_e32 v30, v20
	s_branch .LBB31_91
.LBB31_101:                             ;   in Loop: Header=BB31_12 Depth=1
	v_mov_b32_e32 v30, v23
	s_branch .LBB31_95
.LBB31_102:                             ;   in Loop: Header=BB31_12 Depth=1
	v_mov_b32_e32 v30, v26
.LBB31_103:                             ;   in Loop: Header=BB31_12 Depth=1
	v_add_u32_e32 v14, v29, v25
	v_mov_b32_e32 v30, v27
	s_branch .LBB31_9
.LBB31_104:
	s_endpgm
	.section	.rodata,"a",@progbits
	.p2align	6, 0x0
	.amdhsa_kernel _ZN9rocsparseL39bsrgeam_block_per_row_multipass_kernel2ILj256ELj32E21rocsparse_complex_numIdEEEv20rocsparse_direction_iiiNS_24const_host_device_scalarIT1_EEPKiS8_PKS5_S6_S8_S8_SA_S8_PiPS5_21rocsparse_index_base_SD_SD_b
		.amdhsa_group_segment_fixed_size 20488
		.amdhsa_private_segment_fixed_size 0
		.amdhsa_kernarg_size 136
		.amdhsa_user_sgpr_count 8
		.amdhsa_user_sgpr_private_segment_buffer 1
		.amdhsa_user_sgpr_dispatch_ptr 1
		.amdhsa_user_sgpr_queue_ptr 0
		.amdhsa_user_sgpr_kernarg_segment_ptr 1
		.amdhsa_user_sgpr_dispatch_id 0
		.amdhsa_user_sgpr_flat_scratch_init 0
		.amdhsa_user_sgpr_kernarg_preload_length 0
		.amdhsa_user_sgpr_kernarg_preload_offset 0
		.amdhsa_user_sgpr_private_segment_size 0
		.amdhsa_uses_dynamic_stack 0
		.amdhsa_system_sgpr_private_segment_wavefront_offset 0
		.amdhsa_system_sgpr_workgroup_id_x 1
		.amdhsa_system_sgpr_workgroup_id_y 0
		.amdhsa_system_sgpr_workgroup_id_z 0
		.amdhsa_system_sgpr_workgroup_info 0
		.amdhsa_system_vgpr_workitem_id 2
		.amdhsa_next_free_vgpr 44
		.amdhsa_next_free_sgpr 47
		.amdhsa_accum_offset 44
		.amdhsa_reserve_vcc 1
		.amdhsa_reserve_flat_scratch 0
		.amdhsa_float_round_mode_32 0
		.amdhsa_float_round_mode_16_64 0
		.amdhsa_float_denorm_mode_32 3
		.amdhsa_float_denorm_mode_16_64 3
		.amdhsa_dx10_clamp 1
		.amdhsa_ieee_mode 1
		.amdhsa_fp16_overflow 0
		.amdhsa_tg_split 0
		.amdhsa_exception_fp_ieee_invalid_op 0
		.amdhsa_exception_fp_denorm_src 0
		.amdhsa_exception_fp_ieee_div_zero 0
		.amdhsa_exception_fp_ieee_overflow 0
		.amdhsa_exception_fp_ieee_underflow 0
		.amdhsa_exception_fp_ieee_inexact 0
		.amdhsa_exception_int_div_zero 0
	.end_amdhsa_kernel
	.section	.text._ZN9rocsparseL39bsrgeam_block_per_row_multipass_kernel2ILj256ELj32E21rocsparse_complex_numIdEEEv20rocsparse_direction_iiiNS_24const_host_device_scalarIT1_EEPKiS8_PKS5_S6_S8_S8_SA_S8_PiPS5_21rocsparse_index_base_SD_SD_b,"axG",@progbits,_ZN9rocsparseL39bsrgeam_block_per_row_multipass_kernel2ILj256ELj32E21rocsparse_complex_numIdEEEv20rocsparse_direction_iiiNS_24const_host_device_scalarIT1_EEPKiS8_PKS5_S6_S8_S8_SA_S8_PiPS5_21rocsparse_index_base_SD_SD_b,comdat
.Lfunc_end31:
	.size	_ZN9rocsparseL39bsrgeam_block_per_row_multipass_kernel2ILj256ELj32E21rocsparse_complex_numIdEEEv20rocsparse_direction_iiiNS_24const_host_device_scalarIT1_EEPKiS8_PKS5_S6_S8_S8_SA_S8_PiPS5_21rocsparse_index_base_SD_SD_b, .Lfunc_end31-_ZN9rocsparseL39bsrgeam_block_per_row_multipass_kernel2ILj256ELj32E21rocsparse_complex_numIdEEEv20rocsparse_direction_iiiNS_24const_host_device_scalarIT1_EEPKiS8_PKS5_S6_S8_S8_SA_S8_PiPS5_21rocsparse_index_base_SD_SD_b
                                        ; -- End function
	.section	.AMDGPU.csdata,"",@progbits
; Kernel info:
; codeLenInByte = 2868
; NumSgprs: 51
; NumVgprs: 44
; NumAgprs: 0
; TotalNumVgprs: 44
; ScratchSize: 0
; MemoryBound: 0
; FloatMode: 240
; IeeeMode: 1
; LDSByteSize: 20488 bytes/workgroup (compile time only)
; SGPRBlocks: 6
; VGPRBlocks: 5
; NumSGPRsForWavesPerEU: 51
; NumVGPRsForWavesPerEU: 44
; AccumOffset: 44
; Occupancy: 3
; WaveLimiterHint : 1
; COMPUTE_PGM_RSRC2:SCRATCH_EN: 0
; COMPUTE_PGM_RSRC2:USER_SGPR: 8
; COMPUTE_PGM_RSRC2:TRAP_HANDLER: 0
; COMPUTE_PGM_RSRC2:TGID_X_EN: 1
; COMPUTE_PGM_RSRC2:TGID_Y_EN: 0
; COMPUTE_PGM_RSRC2:TGID_Z_EN: 0
; COMPUTE_PGM_RSRC2:TIDIG_COMP_CNT: 2
; COMPUTE_PGM_RSRC3_GFX90A:ACCUM_OFFSET: 10
; COMPUTE_PGM_RSRC3_GFX90A:TG_SPLIT: 0
	.text
	.p2alignl 6, 3212836864
	.fill 256, 4, 3212836864
	.type	__hip_cuid_b10d8ea68abfb0a6,@object ; @__hip_cuid_b10d8ea68abfb0a6
	.section	.bss,"aw",@nobits
	.globl	__hip_cuid_b10d8ea68abfb0a6
__hip_cuid_b10d8ea68abfb0a6:
	.byte	0                               ; 0x0
	.size	__hip_cuid_b10d8ea68abfb0a6, 1

	.ident	"AMD clang version 19.0.0git (https://github.com/RadeonOpenCompute/llvm-project roc-6.4.0 25133 c7fe45cf4b819c5991fe208aaa96edf142730f1d)"
	.section	".note.GNU-stack","",@progbits
	.addrsig
	.addrsig_sym __hip_cuid_b10d8ea68abfb0a6
	.amdgpu_metadata
---
amdhsa.kernels:
  - .agpr_count:     0
    .args:
      - .offset:         0
        .size:           4
        .value_kind:     by_value
      - .offset:         4
        .size:           4
        .value_kind:     by_value
      - .offset:         8
        .size:           4
        .value_kind:     by_value
      - .offset:         12
        .size:           4
        .value_kind:     by_value
      - .offset:         16
        .size:           8
        .value_kind:     by_value
      - .actual_access:  read_only
        .address_space:  global
        .offset:         24
        .size:           8
        .value_kind:     global_buffer
      - .actual_access:  read_only
        .address_space:  global
        .offset:         32
        .size:           8
        .value_kind:     global_buffer
      - .actual_access:  read_only
        .address_space:  global
        .offset:         40
        .size:           8
        .value_kind:     global_buffer
      - .offset:         48
        .size:           8
        .value_kind:     by_value
      - .actual_access:  read_only
        .address_space:  global
        .offset:         56
        .size:           8
        .value_kind:     global_buffer
      - .actual_access:  read_only
        .address_space:  global
        .offset:         64
        .size:           8
        .value_kind:     global_buffer
      - .actual_access:  read_only
        .address_space:  global
        .offset:         72
        .size:           8
        .value_kind:     global_buffer
      - .actual_access:  read_only
        .address_space:  global
        .offset:         80
        .size:           8
        .value_kind:     global_buffer
      - .actual_access:  write_only
        .address_space:  global
        .offset:         88
        .size:           8
        .value_kind:     global_buffer
      - .actual_access:  write_only
        .address_space:  global
        .offset:         96
        .size:           8
        .value_kind:     global_buffer
      - .offset:         104
        .size:           4
        .value_kind:     by_value
      - .offset:         108
        .size:           4
        .value_kind:     by_value
      - .offset:         112
        .size:           4
        .value_kind:     by_value
      - .offset:         116
        .size:           1
        .value_kind:     by_value
    .group_segment_fixed_size: 4352
    .kernarg_segment_align: 8
    .kernarg_segment_size: 120
    .language:       OpenCL C
    .language_version:
      - 2
      - 0
    .max_flat_workgroup_size: 256
    .name:           _ZN9rocsparseL39bsrgeam_wf_per_row_multipass_2_3_kernelILj256ELj2ELj32EfEEv20rocsparse_direction_iiiNS_24const_host_device_scalarIT2_EEPKiS6_PKS3_S4_S6_S6_S8_S6_PiPS3_21rocsparse_index_base_SB_SB_b
    .private_segment_fixed_size: 0
    .sgpr_count:     40
    .sgpr_spill_count: 0
    .symbol:         _ZN9rocsparseL39bsrgeam_wf_per_row_multipass_2_3_kernelILj256ELj2ELj32EfEEv20rocsparse_direction_iiiNS_24const_host_device_scalarIT2_EEPKiS6_PKS3_S4_S6_S6_S8_S6_PiPS3_21rocsparse_index_base_SB_SB_b.kd
    .uniform_work_group_size: 1
    .uses_dynamic_stack: false
    .vgpr_count:     40
    .vgpr_spill_count: 0
    .wavefront_size: 64
  - .agpr_count:     0
    .args:
      - .offset:         0
        .size:           4
        .value_kind:     by_value
      - .offset:         4
        .size:           4
        .value_kind:     by_value
      - .offset:         8
        .size:           4
        .value_kind:     by_value
      - .offset:         12
        .size:           4
        .value_kind:     by_value
      - .offset:         16
        .size:           8
        .value_kind:     by_value
      - .actual_access:  read_only
        .address_space:  global
        .offset:         24
        .size:           8
        .value_kind:     global_buffer
      - .actual_access:  read_only
        .address_space:  global
        .offset:         32
        .size:           8
        .value_kind:     global_buffer
      - .actual_access:  read_only
        .address_space:  global
        .offset:         40
        .size:           8
        .value_kind:     global_buffer
      - .offset:         48
        .size:           8
        .value_kind:     by_value
      - .actual_access:  read_only
        .address_space:  global
        .offset:         56
        .size:           8
        .value_kind:     global_buffer
      - .actual_access:  read_only
        .address_space:  global
        .offset:         64
        .size:           8
        .value_kind:     global_buffer
      - .actual_access:  read_only
        .address_space:  global
        .offset:         72
        .size:           8
        .value_kind:     global_buffer
      - .actual_access:  read_only
        .address_space:  global
        .offset:         80
        .size:           8
        .value_kind:     global_buffer
      - .actual_access:  write_only
        .address_space:  global
        .offset:         88
        .size:           8
        .value_kind:     global_buffer
      - .actual_access:  write_only
        .address_space:  global
        .offset:         96
        .size:           8
        .value_kind:     global_buffer
      - .offset:         104
        .size:           4
        .value_kind:     by_value
      - .offset:         108
        .size:           4
        .value_kind:     by_value
      - .offset:         112
        .size:           4
        .value_kind:     by_value
      - .offset:         116
        .size:           1
        .value_kind:     by_value
    .group_segment_fixed_size: 4352
    .kernarg_segment_align: 8
    .kernarg_segment_size: 120
    .language:       OpenCL C
    .language_version:
      - 2
      - 0
    .max_flat_workgroup_size: 256
    .name:           _ZN9rocsparseL39bsrgeam_wf_per_row_multipass_2_3_kernelILj256ELj2ELj64EfEEv20rocsparse_direction_iiiNS_24const_host_device_scalarIT2_EEPKiS6_PKS3_S4_S6_S6_S8_S6_PiPS3_21rocsparse_index_base_SB_SB_b
    .private_segment_fixed_size: 0
    .sgpr_count:     40
    .sgpr_spill_count: 0
    .symbol:         _ZN9rocsparseL39bsrgeam_wf_per_row_multipass_2_3_kernelILj256ELj2ELj64EfEEv20rocsparse_direction_iiiNS_24const_host_device_scalarIT2_EEPKiS6_PKS3_S4_S6_S6_S8_S6_PiPS3_21rocsparse_index_base_SB_SB_b.kd
    .uniform_work_group_size: 1
    .uses_dynamic_stack: false
    .vgpr_count:     42
    .vgpr_spill_count: 0
    .wavefront_size: 64
  - .agpr_count:     0
    .args:
      - .offset:         0
        .size:           4
        .value_kind:     by_value
      - .offset:         4
        .size:           4
        .value_kind:     by_value
      - .offset:         8
        .size:           4
        .value_kind:     by_value
      - .offset:         12
        .size:           4
        .value_kind:     by_value
      - .offset:         16
        .size:           8
        .value_kind:     by_value
      - .actual_access:  read_only
        .address_space:  global
        .offset:         24
        .size:           8
        .value_kind:     global_buffer
      - .actual_access:  read_only
        .address_space:  global
        .offset:         32
        .size:           8
        .value_kind:     global_buffer
      - .actual_access:  read_only
        .address_space:  global
        .offset:         40
        .size:           8
        .value_kind:     global_buffer
      - .offset:         48
        .size:           8
        .value_kind:     by_value
      - .actual_access:  read_only
        .address_space:  global
        .offset:         56
        .size:           8
        .value_kind:     global_buffer
      - .actual_access:  read_only
        .address_space:  global
        .offset:         64
        .size:           8
        .value_kind:     global_buffer
      - .actual_access:  read_only
        .address_space:  global
        .offset:         72
        .size:           8
        .value_kind:     global_buffer
      - .actual_access:  read_only
        .address_space:  global
        .offset:         80
        .size:           8
        .value_kind:     global_buffer
      - .actual_access:  write_only
        .address_space:  global
        .offset:         88
        .size:           8
        .value_kind:     global_buffer
      - .actual_access:  write_only
        .address_space:  global
        .offset:         96
        .size:           8
        .value_kind:     global_buffer
      - .offset:         104
        .size:           4
        .value_kind:     by_value
      - .offset:         108
        .size:           4
        .value_kind:     by_value
      - .offset:         112
        .size:           4
        .value_kind:     by_value
      - .offset:         116
        .size:           1
        .value_kind:     by_value
    .group_segment_fixed_size: 9472
    .kernarg_segment_align: 8
    .kernarg_segment_size: 120
    .language:       OpenCL C
    .language_version:
      - 2
      - 0
    .max_flat_workgroup_size: 256
    .name:           _ZN9rocsparseL39bsrgeam_wf_per_row_multipass_2_3_kernelILj256ELj3ELj32EfEEv20rocsparse_direction_iiiNS_24const_host_device_scalarIT2_EEPKiS6_PKS3_S4_S6_S6_S8_S6_PiPS3_21rocsparse_index_base_SB_SB_b
    .private_segment_fixed_size: 0
    .sgpr_count:     44
    .sgpr_spill_count: 0
    .symbol:         _ZN9rocsparseL39bsrgeam_wf_per_row_multipass_2_3_kernelILj256ELj3ELj32EfEEv20rocsparse_direction_iiiNS_24const_host_device_scalarIT2_EEPKiS6_PKS3_S4_S6_S6_S8_S6_PiPS3_21rocsparse_index_base_SB_SB_b.kd
    .uniform_work_group_size: 1
    .uses_dynamic_stack: false
    .vgpr_count:     62
    .vgpr_spill_count: 0
    .wavefront_size: 64
  - .agpr_count:     0
    .args:
      - .offset:         0
        .size:           4
        .value_kind:     by_value
      - .offset:         4
        .size:           4
        .value_kind:     by_value
      - .offset:         8
        .size:           4
        .value_kind:     by_value
      - .offset:         12
        .size:           4
        .value_kind:     by_value
      - .offset:         16
        .size:           8
        .value_kind:     by_value
      - .actual_access:  read_only
        .address_space:  global
        .offset:         24
        .size:           8
        .value_kind:     global_buffer
      - .actual_access:  read_only
        .address_space:  global
        .offset:         32
        .size:           8
        .value_kind:     global_buffer
      - .actual_access:  read_only
        .address_space:  global
        .offset:         40
        .size:           8
        .value_kind:     global_buffer
      - .offset:         48
        .size:           8
        .value_kind:     by_value
      - .actual_access:  read_only
        .address_space:  global
        .offset:         56
        .size:           8
        .value_kind:     global_buffer
      - .actual_access:  read_only
        .address_space:  global
        .offset:         64
        .size:           8
        .value_kind:     global_buffer
      - .actual_access:  read_only
        .address_space:  global
        .offset:         72
        .size:           8
        .value_kind:     global_buffer
      - .actual_access:  read_only
        .address_space:  global
        .offset:         80
        .size:           8
        .value_kind:     global_buffer
      - .actual_access:  write_only
        .address_space:  global
        .offset:         88
        .size:           8
        .value_kind:     global_buffer
      - .actual_access:  write_only
        .address_space:  global
        .offset:         96
        .size:           8
        .value_kind:     global_buffer
      - .offset:         104
        .size:           4
        .value_kind:     by_value
      - .offset:         108
        .size:           4
        .value_kind:     by_value
      - .offset:         112
        .size:           4
        .value_kind:     by_value
      - .offset:         116
        .size:           1
        .value_kind:     by_value
    .group_segment_fixed_size: 9472
    .kernarg_segment_align: 8
    .kernarg_segment_size: 120
    .language:       OpenCL C
    .language_version:
      - 2
      - 0
    .max_flat_workgroup_size: 256
    .name:           _ZN9rocsparseL39bsrgeam_wf_per_row_multipass_2_3_kernelILj256ELj3ELj64EfEEv20rocsparse_direction_iiiNS_24const_host_device_scalarIT2_EEPKiS6_PKS3_S4_S6_S6_S8_S6_PiPS3_21rocsparse_index_base_SB_SB_b
    .private_segment_fixed_size: 0
    .sgpr_count:     44
    .sgpr_spill_count: 0
    .symbol:         _ZN9rocsparseL39bsrgeam_wf_per_row_multipass_2_3_kernelILj256ELj3ELj64EfEEv20rocsparse_direction_iiiNS_24const_host_device_scalarIT2_EEPKiS6_PKS3_S4_S6_S6_S8_S6_PiPS3_21rocsparse_index_base_SB_SB_b.kd
    .uniform_work_group_size: 1
    .uses_dynamic_stack: false
    .vgpr_count:     64
    .vgpr_spill_count: 0
    .wavefront_size: 64
  - .agpr_count:     0
    .args:
      - .offset:         0
        .size:           4
        .value_kind:     by_value
      - .offset:         4
        .size:           4
        .value_kind:     by_value
      - .offset:         8
        .size:           4
        .value_kind:     by_value
      - .offset:         12
        .size:           4
        .value_kind:     by_value
      - .offset:         16
        .size:           8
        .value_kind:     by_value
      - .actual_access:  read_only
        .address_space:  global
        .offset:         24
        .size:           8
        .value_kind:     global_buffer
      - .actual_access:  read_only
        .address_space:  global
        .offset:         32
        .size:           8
        .value_kind:     global_buffer
      - .actual_access:  read_only
        .address_space:  global
        .offset:         40
        .size:           8
        .value_kind:     global_buffer
      - .offset:         48
        .size:           8
        .value_kind:     by_value
      - .actual_access:  read_only
        .address_space:  global
        .offset:         56
        .size:           8
        .value_kind:     global_buffer
      - .actual_access:  read_only
        .address_space:  global
        .offset:         64
        .size:           8
        .value_kind:     global_buffer
      - .actual_access:  read_only
        .address_space:  global
        .offset:         72
        .size:           8
        .value_kind:     global_buffer
      - .actual_access:  read_only
        .address_space:  global
        .offset:         80
        .size:           8
        .value_kind:     global_buffer
      - .actual_access:  write_only
        .address_space:  global
        .offset:         88
        .size:           8
        .value_kind:     global_buffer
      - .actual_access:  write_only
        .address_space:  global
        .offset:         96
        .size:           8
        .value_kind:     global_buffer
      - .offset:         104
        .size:           4
        .value_kind:     by_value
      - .offset:         108
        .size:           4
        .value_kind:     by_value
      - .offset:         112
        .size:           4
        .value_kind:     by_value
      - .offset:         116
        .size:           1
        .value_kind:     by_value
    .group_segment_fixed_size: 288
    .kernarg_segment_align: 8
    .kernarg_segment_size: 120
    .language:       OpenCL C
    .language_version:
      - 2
      - 0
    .max_flat_workgroup_size: 64
    .name:           _ZN9rocsparseL35bsrgeam_wf_per_row_multipass_kernelILj64ELj4EfEEv20rocsparse_direction_iiiNS_24const_host_device_scalarIT1_EEPKiS6_PKS3_S4_S6_S6_S8_S6_PiPS3_21rocsparse_index_base_SB_SB_b
    .private_segment_fixed_size: 0
    .sgpr_count:     46
    .sgpr_spill_count: 0
    .symbol:         _ZN9rocsparseL35bsrgeam_wf_per_row_multipass_kernelILj64ELj4EfEEv20rocsparse_direction_iiiNS_24const_host_device_scalarIT1_EEPKiS6_PKS3_S4_S6_S6_S8_S6_PiPS3_21rocsparse_index_base_SB_SB_b.kd
    .uniform_work_group_size: 1
    .uses_dynamic_stack: false
    .vgpr_count:     30
    .vgpr_spill_count: 0
    .wavefront_size: 64
  - .agpr_count:     0
    .args:
      - .offset:         0
        .size:           4
        .value_kind:     by_value
      - .offset:         4
        .size:           4
        .value_kind:     by_value
      - .offset:         8
        .size:           4
        .value_kind:     by_value
      - .offset:         12
        .size:           4
        .value_kind:     by_value
      - .offset:         16
        .size:           8
        .value_kind:     by_value
      - .actual_access:  read_only
        .address_space:  global
        .offset:         24
        .size:           8
        .value_kind:     global_buffer
      - .actual_access:  read_only
        .address_space:  global
        .offset:         32
        .size:           8
        .value_kind:     global_buffer
      - .actual_access:  read_only
        .address_space:  global
        .offset:         40
        .size:           8
        .value_kind:     global_buffer
      - .offset:         48
        .size:           8
        .value_kind:     by_value
      - .actual_access:  read_only
        .address_space:  global
        .offset:         56
        .size:           8
        .value_kind:     global_buffer
      - .actual_access:  read_only
        .address_space:  global
        .offset:         64
        .size:           8
        .value_kind:     global_buffer
      - .actual_access:  read_only
        .address_space:  global
        .offset:         72
        .size:           8
        .value_kind:     global_buffer
      - .actual_access:  read_only
        .address_space:  global
        .offset:         80
        .size:           8
        .value_kind:     global_buffer
      - .actual_access:  write_only
        .address_space:  global
        .offset:         88
        .size:           8
        .value_kind:     global_buffer
      - .actual_access:  write_only
        .address_space:  global
        .offset:         96
        .size:           8
        .value_kind:     global_buffer
      - .offset:         104
        .size:           4
        .value_kind:     by_value
      - .offset:         108
        .size:           4
        .value_kind:     by_value
      - .offset:         112
        .size:           4
        .value_kind:     by_value
      - .offset:         116
        .size:           1
        .value_kind:     by_value
    .group_segment_fixed_size: 264
    .kernarg_segment_align: 8
    .kernarg_segment_size: 120
    .language:       OpenCL C
    .language_version:
      - 2
      - 0
    .max_flat_workgroup_size: 64
    .name:           _ZN9rocsparseL35bsrgeam_wf_per_row_multipass_kernelILj64ELj8EfEEv20rocsparse_direction_iiiNS_24const_host_device_scalarIT1_EEPKiS6_PKS3_S4_S6_S6_S8_S6_PiPS3_21rocsparse_index_base_SB_SB_b
    .private_segment_fixed_size: 0
    .sgpr_count:     42
    .sgpr_spill_count: 0
    .symbol:         _ZN9rocsparseL35bsrgeam_wf_per_row_multipass_kernelILj64ELj8EfEEv20rocsparse_direction_iiiNS_24const_host_device_scalarIT1_EEPKiS6_PKS3_S4_S6_S6_S8_S6_PiPS3_21rocsparse_index_base_SB_SB_b.kd
    .uniform_work_group_size: 1
    .uses_dynamic_stack: false
    .vgpr_count:     28
    .vgpr_spill_count: 0
    .wavefront_size: 64
  - .agpr_count:     0
    .args:
      - .offset:         0
        .size:           4
        .value_kind:     by_value
      - .offset:         4
        .size:           4
        .value_kind:     by_value
      - .offset:         8
        .size:           4
        .value_kind:     by_value
      - .offset:         12
        .size:           4
        .value_kind:     by_value
      - .offset:         16
        .size:           8
        .value_kind:     by_value
      - .actual_access:  read_only
        .address_space:  global
        .offset:         24
        .size:           8
        .value_kind:     global_buffer
      - .actual_access:  read_only
        .address_space:  global
        .offset:         32
        .size:           8
        .value_kind:     global_buffer
      - .actual_access:  read_only
        .address_space:  global
        .offset:         40
        .size:           8
        .value_kind:     global_buffer
      - .offset:         48
        .size:           8
        .value_kind:     by_value
      - .actual_access:  read_only
        .address_space:  global
        .offset:         56
        .size:           8
        .value_kind:     global_buffer
      - .actual_access:  read_only
        .address_space:  global
        .offset:         64
        .size:           8
        .value_kind:     global_buffer
      - .actual_access:  read_only
        .address_space:  global
        .offset:         72
        .size:           8
        .value_kind:     global_buffer
      - .actual_access:  read_only
        .address_space:  global
        .offset:         80
        .size:           8
        .value_kind:     global_buffer
      - .actual_access:  write_only
        .address_space:  global
        .offset:         88
        .size:           8
        .value_kind:     global_buffer
      - .actual_access:  write_only
        .address_space:  global
        .offset:         96
        .size:           8
        .value_kind:     global_buffer
      - .offset:         104
        .size:           4
        .value_kind:     by_value
      - .offset:         108
        .size:           4
        .value_kind:     by_value
      - .offset:         112
        .size:           4
        .value_kind:     by_value
      - .offset:         116
        .size:           1
        .value_kind:     by_value
    .group_segment_fixed_size: 1028
    .kernarg_segment_align: 8
    .kernarg_segment_size: 120
    .language:       OpenCL C
    .language_version:
      - 2
      - 0
    .max_flat_workgroup_size: 256
    .name:           _ZN9rocsparseL39bsrgeam_block_per_row_multipass_kernel2ILj256ELj16EfEEv20rocsparse_direction_iiiNS_24const_host_device_scalarIT1_EEPKiS6_PKS3_S4_S6_S6_S8_S6_PiPS3_21rocsparse_index_base_SB_SB_b
    .private_segment_fixed_size: 0
    .sgpr_count:     46
    .sgpr_spill_count: 0
    .symbol:         _ZN9rocsparseL39bsrgeam_block_per_row_multipass_kernel2ILj256ELj16EfEEv20rocsparse_direction_iiiNS_24const_host_device_scalarIT1_EEPKiS6_PKS3_S4_S6_S6_S8_S6_PiPS3_21rocsparse_index_base_SB_SB_b.kd
    .uniform_work_group_size: 1
    .uses_dynamic_stack: false
    .vgpr_count:     24
    .vgpr_spill_count: 0
    .wavefront_size: 64
  - .agpr_count:     0
    .args:
      - .offset:         0
        .size:           4
        .value_kind:     by_value
      - .offset:         4
        .size:           4
        .value_kind:     by_value
      - .offset:         8
        .size:           4
        .value_kind:     by_value
      - .offset:         12
        .size:           4
        .value_kind:     by_value
      - .offset:         16
        .size:           8
        .value_kind:     by_value
      - .actual_access:  read_only
        .address_space:  global
        .offset:         24
        .size:           8
        .value_kind:     global_buffer
      - .actual_access:  read_only
        .address_space:  global
        .offset:         32
        .size:           8
        .value_kind:     global_buffer
      - .actual_access:  read_only
        .address_space:  global
        .offset:         40
        .size:           8
        .value_kind:     global_buffer
      - .offset:         48
        .size:           8
        .value_kind:     by_value
      - .actual_access:  read_only
        .address_space:  global
        .offset:         56
        .size:           8
        .value_kind:     global_buffer
      - .actual_access:  read_only
        .address_space:  global
        .offset:         64
        .size:           8
        .value_kind:     global_buffer
      - .actual_access:  read_only
        .address_space:  global
        .offset:         72
        .size:           8
        .value_kind:     global_buffer
      - .actual_access:  read_only
        .address_space:  global
        .offset:         80
        .size:           8
        .value_kind:     global_buffer
      - .actual_access:  write_only
        .address_space:  global
        .offset:         88
        .size:           8
        .value_kind:     global_buffer
      - .actual_access:  write_only
        .address_space:  global
        .offset:         96
        .size:           8
        .value_kind:     global_buffer
      - .offset:         104
        .size:           4
        .value_kind:     by_value
      - .offset:         108
        .size:           4
        .value_kind:     by_value
      - .offset:         112
        .size:           4
        .value_kind:     by_value
      - .offset:         116
        .size:           1
        .value_kind:     by_value
    .group_segment_fixed_size: 4100
    .kernarg_segment_align: 8
    .kernarg_segment_size: 120
    .language:       OpenCL C
    .language_version:
      - 2
      - 0
    .max_flat_workgroup_size: 256
    .name:           _ZN9rocsparseL39bsrgeam_block_per_row_multipass_kernel2ILj256ELj32EfEEv20rocsparse_direction_iiiNS_24const_host_device_scalarIT1_EEPKiS6_PKS3_S4_S6_S6_S8_S6_PiPS3_21rocsparse_index_base_SB_SB_b
    .private_segment_fixed_size: 0
    .sgpr_count:     52
    .sgpr_spill_count: 0
    .symbol:         _ZN9rocsparseL39bsrgeam_block_per_row_multipass_kernel2ILj256ELj32EfEEv20rocsparse_direction_iiiNS_24const_host_device_scalarIT1_EEPKiS6_PKS3_S4_S6_S6_S8_S6_PiPS3_21rocsparse_index_base_SB_SB_b.kd
    .uniform_work_group_size: 1
    .uses_dynamic_stack: false
    .vgpr_count:     26
    .vgpr_spill_count: 0
    .wavefront_size: 64
  - .agpr_count:     0
    .args:
      - .offset:         0
        .size:           4
        .value_kind:     by_value
      - .offset:         4
        .size:           4
        .value_kind:     by_value
      - .offset:         8
        .size:           4
        .value_kind:     by_value
      - .offset:         12
        .size:           4
        .value_kind:     by_value
      - .offset:         16
        .size:           8
        .value_kind:     by_value
      - .actual_access:  read_only
        .address_space:  global
        .offset:         24
        .size:           8
        .value_kind:     global_buffer
      - .actual_access:  read_only
        .address_space:  global
        .offset:         32
        .size:           8
        .value_kind:     global_buffer
      - .actual_access:  read_only
        .address_space:  global
        .offset:         40
        .size:           8
        .value_kind:     global_buffer
      - .offset:         48
        .size:           8
        .value_kind:     by_value
      - .actual_access:  read_only
        .address_space:  global
        .offset:         56
        .size:           8
        .value_kind:     global_buffer
      - .actual_access:  read_only
        .address_space:  global
        .offset:         64
        .size:           8
        .value_kind:     global_buffer
      - .actual_access:  read_only
        .address_space:  global
        .offset:         72
        .size:           8
        .value_kind:     global_buffer
      - .actual_access:  read_only
        .address_space:  global
        .offset:         80
        .size:           8
        .value_kind:     global_buffer
      - .actual_access:  write_only
        .address_space:  global
        .offset:         88
        .size:           8
        .value_kind:     global_buffer
      - .actual_access:  write_only
        .address_space:  global
        .offset:         96
        .size:           8
        .value_kind:     global_buffer
      - .offset:         104
        .size:           4
        .value_kind:     by_value
      - .offset:         108
        .size:           4
        .value_kind:     by_value
      - .offset:         112
        .size:           4
        .value_kind:     by_value
      - .offset:         116
        .size:           1
        .value_kind:     by_value
    .group_segment_fixed_size: 8448
    .kernarg_segment_align: 8
    .kernarg_segment_size: 120
    .language:       OpenCL C
    .language_version:
      - 2
      - 0
    .max_flat_workgroup_size: 256
    .name:           _ZN9rocsparseL39bsrgeam_wf_per_row_multipass_2_3_kernelILj256ELj2ELj32EdEEv20rocsparse_direction_iiiNS_24const_host_device_scalarIT2_EEPKiS6_PKS3_S4_S6_S6_S8_S6_PiPS3_21rocsparse_index_base_SB_SB_b
    .private_segment_fixed_size: 0
    .sgpr_count:     35
    .sgpr_spill_count: 0
    .symbol:         _ZN9rocsparseL39bsrgeam_wf_per_row_multipass_2_3_kernelILj256ELj2ELj32EdEEv20rocsparse_direction_iiiNS_24const_host_device_scalarIT2_EEPKiS6_PKS3_S4_S6_S6_S8_S6_PiPS3_21rocsparse_index_base_SB_SB_b.kd
    .uniform_work_group_size: 1
    .uses_dynamic_stack: false
    .vgpr_count:     46
    .vgpr_spill_count: 0
    .wavefront_size: 64
  - .agpr_count:     0
    .args:
      - .offset:         0
        .size:           4
        .value_kind:     by_value
      - .offset:         4
        .size:           4
        .value_kind:     by_value
      - .offset:         8
        .size:           4
        .value_kind:     by_value
      - .offset:         12
        .size:           4
        .value_kind:     by_value
      - .offset:         16
        .size:           8
        .value_kind:     by_value
      - .actual_access:  read_only
        .address_space:  global
        .offset:         24
        .size:           8
        .value_kind:     global_buffer
      - .actual_access:  read_only
        .address_space:  global
        .offset:         32
        .size:           8
        .value_kind:     global_buffer
      - .actual_access:  read_only
        .address_space:  global
        .offset:         40
        .size:           8
        .value_kind:     global_buffer
      - .offset:         48
        .size:           8
        .value_kind:     by_value
      - .actual_access:  read_only
        .address_space:  global
        .offset:         56
        .size:           8
        .value_kind:     global_buffer
      - .actual_access:  read_only
        .address_space:  global
        .offset:         64
        .size:           8
        .value_kind:     global_buffer
      - .actual_access:  read_only
        .address_space:  global
        .offset:         72
        .size:           8
        .value_kind:     global_buffer
      - .actual_access:  read_only
        .address_space:  global
        .offset:         80
        .size:           8
        .value_kind:     global_buffer
      - .actual_access:  write_only
        .address_space:  global
        .offset:         88
        .size:           8
        .value_kind:     global_buffer
      - .actual_access:  write_only
        .address_space:  global
        .offset:         96
        .size:           8
        .value_kind:     global_buffer
      - .offset:         104
        .size:           4
        .value_kind:     by_value
      - .offset:         108
        .size:           4
        .value_kind:     by_value
      - .offset:         112
        .size:           4
        .value_kind:     by_value
      - .offset:         116
        .size:           1
        .value_kind:     by_value
    .group_segment_fixed_size: 8448
    .kernarg_segment_align: 8
    .kernarg_segment_size: 120
    .language:       OpenCL C
    .language_version:
      - 2
      - 0
    .max_flat_workgroup_size: 256
    .name:           _ZN9rocsparseL39bsrgeam_wf_per_row_multipass_2_3_kernelILj256ELj2ELj64EdEEv20rocsparse_direction_iiiNS_24const_host_device_scalarIT2_EEPKiS6_PKS3_S4_S6_S6_S8_S6_PiPS3_21rocsparse_index_base_SB_SB_b
    .private_segment_fixed_size: 0
    .sgpr_count:     35
    .sgpr_spill_count: 0
    .symbol:         _ZN9rocsparseL39bsrgeam_wf_per_row_multipass_2_3_kernelILj256ELj2ELj64EdEEv20rocsparse_direction_iiiNS_24const_host_device_scalarIT2_EEPKiS6_PKS3_S4_S6_S6_S8_S6_PiPS3_21rocsparse_index_base_SB_SB_b.kd
    .uniform_work_group_size: 1
    .uses_dynamic_stack: false
    .vgpr_count:     48
    .vgpr_spill_count: 0
    .wavefront_size: 64
  - .agpr_count:     0
    .args:
      - .offset:         0
        .size:           4
        .value_kind:     by_value
      - .offset:         4
        .size:           4
        .value_kind:     by_value
      - .offset:         8
        .size:           4
        .value_kind:     by_value
      - .offset:         12
        .size:           4
        .value_kind:     by_value
      - .offset:         16
        .size:           8
        .value_kind:     by_value
      - .actual_access:  read_only
        .address_space:  global
        .offset:         24
        .size:           8
        .value_kind:     global_buffer
      - .actual_access:  read_only
        .address_space:  global
        .offset:         32
        .size:           8
        .value_kind:     global_buffer
      - .actual_access:  read_only
        .address_space:  global
        .offset:         40
        .size:           8
        .value_kind:     global_buffer
      - .offset:         48
        .size:           8
        .value_kind:     by_value
      - .actual_access:  read_only
        .address_space:  global
        .offset:         56
        .size:           8
        .value_kind:     global_buffer
      - .actual_access:  read_only
        .address_space:  global
        .offset:         64
        .size:           8
        .value_kind:     global_buffer
      - .actual_access:  read_only
        .address_space:  global
        .offset:         72
        .size:           8
        .value_kind:     global_buffer
      - .actual_access:  read_only
        .address_space:  global
        .offset:         80
        .size:           8
        .value_kind:     global_buffer
      - .actual_access:  write_only
        .address_space:  global
        .offset:         88
        .size:           8
        .value_kind:     global_buffer
      - .actual_access:  write_only
        .address_space:  global
        .offset:         96
        .size:           8
        .value_kind:     global_buffer
      - .offset:         104
        .size:           4
        .value_kind:     by_value
      - .offset:         108
        .size:           4
        .value_kind:     by_value
      - .offset:         112
        .size:           4
        .value_kind:     by_value
      - .offset:         116
        .size:           1
        .value_kind:     by_value
    .group_segment_fixed_size: 18688
    .kernarg_segment_align: 8
    .kernarg_segment_size: 120
    .language:       OpenCL C
    .language_version:
      - 2
      - 0
    .max_flat_workgroup_size: 256
    .name:           _ZN9rocsparseL39bsrgeam_wf_per_row_multipass_2_3_kernelILj256ELj3ELj32EdEEv20rocsparse_direction_iiiNS_24const_host_device_scalarIT2_EEPKiS6_PKS3_S4_S6_S6_S8_S6_PiPS3_21rocsparse_index_base_SB_SB_b
    .private_segment_fixed_size: 0
    .sgpr_count:     41
    .sgpr_spill_count: 0
    .symbol:         _ZN9rocsparseL39bsrgeam_wf_per_row_multipass_2_3_kernelILj256ELj3ELj32EdEEv20rocsparse_direction_iiiNS_24const_host_device_scalarIT2_EEPKiS6_PKS3_S4_S6_S6_S8_S6_PiPS3_21rocsparse_index_base_SB_SB_b.kd
    .uniform_work_group_size: 1
    .uses_dynamic_stack: false
    .vgpr_count:     80
    .vgpr_spill_count: 0
    .wavefront_size: 64
  - .agpr_count:     0
    .args:
      - .offset:         0
        .size:           4
        .value_kind:     by_value
      - .offset:         4
        .size:           4
        .value_kind:     by_value
      - .offset:         8
        .size:           4
        .value_kind:     by_value
      - .offset:         12
        .size:           4
        .value_kind:     by_value
      - .offset:         16
        .size:           8
        .value_kind:     by_value
      - .actual_access:  read_only
        .address_space:  global
        .offset:         24
        .size:           8
        .value_kind:     global_buffer
      - .actual_access:  read_only
        .address_space:  global
        .offset:         32
        .size:           8
        .value_kind:     global_buffer
      - .actual_access:  read_only
        .address_space:  global
        .offset:         40
        .size:           8
        .value_kind:     global_buffer
      - .offset:         48
        .size:           8
        .value_kind:     by_value
      - .actual_access:  read_only
        .address_space:  global
        .offset:         56
        .size:           8
        .value_kind:     global_buffer
      - .actual_access:  read_only
        .address_space:  global
        .offset:         64
        .size:           8
        .value_kind:     global_buffer
      - .actual_access:  read_only
        .address_space:  global
        .offset:         72
        .size:           8
        .value_kind:     global_buffer
      - .actual_access:  read_only
        .address_space:  global
        .offset:         80
        .size:           8
        .value_kind:     global_buffer
      - .actual_access:  write_only
        .address_space:  global
        .offset:         88
        .size:           8
        .value_kind:     global_buffer
      - .actual_access:  write_only
        .address_space:  global
        .offset:         96
        .size:           8
        .value_kind:     global_buffer
      - .offset:         104
        .size:           4
        .value_kind:     by_value
      - .offset:         108
        .size:           4
        .value_kind:     by_value
      - .offset:         112
        .size:           4
        .value_kind:     by_value
      - .offset:         116
        .size:           1
        .value_kind:     by_value
    .group_segment_fixed_size: 18688
    .kernarg_segment_align: 8
    .kernarg_segment_size: 120
    .language:       OpenCL C
    .language_version:
      - 2
      - 0
    .max_flat_workgroup_size: 256
    .name:           _ZN9rocsparseL39bsrgeam_wf_per_row_multipass_2_3_kernelILj256ELj3ELj64EdEEv20rocsparse_direction_iiiNS_24const_host_device_scalarIT2_EEPKiS6_PKS3_S4_S6_S6_S8_S6_PiPS3_21rocsparse_index_base_SB_SB_b
    .private_segment_fixed_size: 0
    .sgpr_count:     41
    .sgpr_spill_count: 0
    .symbol:         _ZN9rocsparseL39bsrgeam_wf_per_row_multipass_2_3_kernelILj256ELj3ELj64EdEEv20rocsparse_direction_iiiNS_24const_host_device_scalarIT2_EEPKiS6_PKS3_S4_S6_S6_S8_S6_PiPS3_21rocsparse_index_base_SB_SB_b.kd
    .uniform_work_group_size: 1
    .uses_dynamic_stack: false
    .vgpr_count:     82
    .vgpr_spill_count: 0
    .wavefront_size: 64
  - .agpr_count:     0
    .args:
      - .offset:         0
        .size:           4
        .value_kind:     by_value
      - .offset:         4
        .size:           4
        .value_kind:     by_value
      - .offset:         8
        .size:           4
        .value_kind:     by_value
      - .offset:         12
        .size:           4
        .value_kind:     by_value
      - .offset:         16
        .size:           8
        .value_kind:     by_value
      - .actual_access:  read_only
        .address_space:  global
        .offset:         24
        .size:           8
        .value_kind:     global_buffer
      - .actual_access:  read_only
        .address_space:  global
        .offset:         32
        .size:           8
        .value_kind:     global_buffer
      - .actual_access:  read_only
        .address_space:  global
        .offset:         40
        .size:           8
        .value_kind:     global_buffer
      - .offset:         48
        .size:           8
        .value_kind:     by_value
      - .actual_access:  read_only
        .address_space:  global
        .offset:         56
        .size:           8
        .value_kind:     global_buffer
      - .actual_access:  read_only
        .address_space:  global
        .offset:         64
        .size:           8
        .value_kind:     global_buffer
      - .actual_access:  read_only
        .address_space:  global
        .offset:         72
        .size:           8
        .value_kind:     global_buffer
      - .actual_access:  read_only
        .address_space:  global
        .offset:         80
        .size:           8
        .value_kind:     global_buffer
      - .actual_access:  write_only
        .address_space:  global
        .offset:         88
        .size:           8
        .value_kind:     global_buffer
      - .actual_access:  write_only
        .address_space:  global
        .offset:         96
        .size:           8
        .value_kind:     global_buffer
      - .offset:         104
        .size:           4
        .value_kind:     by_value
      - .offset:         108
        .size:           4
        .value_kind:     by_value
      - .offset:         112
        .size:           4
        .value_kind:     by_value
      - .offset:         116
        .size:           1
        .value_kind:     by_value
    .group_segment_fixed_size: 544
    .kernarg_segment_align: 8
    .kernarg_segment_size: 120
    .language:       OpenCL C
    .language_version:
      - 2
      - 0
    .max_flat_workgroup_size: 64
    .name:           _ZN9rocsparseL35bsrgeam_wf_per_row_multipass_kernelILj64ELj4EdEEv20rocsparse_direction_iiiNS_24const_host_device_scalarIT1_EEPKiS6_PKS3_S4_S6_S6_S8_S6_PiPS3_21rocsparse_index_base_SB_SB_b
    .private_segment_fixed_size: 0
    .sgpr_count:     42
    .sgpr_spill_count: 0
    .symbol:         _ZN9rocsparseL35bsrgeam_wf_per_row_multipass_kernelILj64ELj4EdEEv20rocsparse_direction_iiiNS_24const_host_device_scalarIT1_EEPKiS6_PKS3_S4_S6_S6_S8_S6_PiPS3_21rocsparse_index_base_SB_SB_b.kd
    .uniform_work_group_size: 1
    .uses_dynamic_stack: false
    .vgpr_count:     36
    .vgpr_spill_count: 0
    .wavefront_size: 64
  - .agpr_count:     0
    .args:
      - .offset:         0
        .size:           4
        .value_kind:     by_value
      - .offset:         4
        .size:           4
        .value_kind:     by_value
      - .offset:         8
        .size:           4
        .value_kind:     by_value
      - .offset:         12
        .size:           4
        .value_kind:     by_value
      - .offset:         16
        .size:           8
        .value_kind:     by_value
      - .actual_access:  read_only
        .address_space:  global
        .offset:         24
        .size:           8
        .value_kind:     global_buffer
      - .actual_access:  read_only
        .address_space:  global
        .offset:         32
        .size:           8
        .value_kind:     global_buffer
      - .actual_access:  read_only
        .address_space:  global
        .offset:         40
        .size:           8
        .value_kind:     global_buffer
      - .offset:         48
        .size:           8
        .value_kind:     by_value
      - .actual_access:  read_only
        .address_space:  global
        .offset:         56
        .size:           8
        .value_kind:     global_buffer
      - .actual_access:  read_only
        .address_space:  global
        .offset:         64
        .size:           8
        .value_kind:     global_buffer
      - .actual_access:  read_only
        .address_space:  global
        .offset:         72
        .size:           8
        .value_kind:     global_buffer
      - .actual_access:  read_only
        .address_space:  global
        .offset:         80
        .size:           8
        .value_kind:     global_buffer
      - .actual_access:  write_only
        .address_space:  global
        .offset:         88
        .size:           8
        .value_kind:     global_buffer
      - .actual_access:  write_only
        .address_space:  global
        .offset:         96
        .size:           8
        .value_kind:     global_buffer
      - .offset:         104
        .size:           4
        .value_kind:     by_value
      - .offset:         108
        .size:           4
        .value_kind:     by_value
      - .offset:         112
        .size:           4
        .value_kind:     by_value
      - .offset:         116
        .size:           1
        .value_kind:     by_value
    .group_segment_fixed_size: 520
    .kernarg_segment_align: 8
    .kernarg_segment_size: 120
    .language:       OpenCL C
    .language_version:
      - 2
      - 0
    .max_flat_workgroup_size: 64
    .name:           _ZN9rocsparseL35bsrgeam_wf_per_row_multipass_kernelILj64ELj8EdEEv20rocsparse_direction_iiiNS_24const_host_device_scalarIT1_EEPKiS6_PKS3_S4_S6_S6_S8_S6_PiPS3_21rocsparse_index_base_SB_SB_b
    .private_segment_fixed_size: 0
    .sgpr_count:     38
    .sgpr_spill_count: 0
    .symbol:         _ZN9rocsparseL35bsrgeam_wf_per_row_multipass_kernelILj64ELj8EdEEv20rocsparse_direction_iiiNS_24const_host_device_scalarIT1_EEPKiS6_PKS3_S4_S6_S6_S8_S6_PiPS3_21rocsparse_index_base_SB_SB_b.kd
    .uniform_work_group_size: 1
    .uses_dynamic_stack: false
    .vgpr_count:     36
    .vgpr_spill_count: 0
    .wavefront_size: 64
  - .agpr_count:     0
    .args:
      - .offset:         0
        .size:           4
        .value_kind:     by_value
      - .offset:         4
        .size:           4
        .value_kind:     by_value
      - .offset:         8
        .size:           4
        .value_kind:     by_value
      - .offset:         12
        .size:           4
        .value_kind:     by_value
      - .offset:         16
        .size:           8
        .value_kind:     by_value
      - .actual_access:  read_only
        .address_space:  global
        .offset:         24
        .size:           8
        .value_kind:     global_buffer
      - .actual_access:  read_only
        .address_space:  global
        .offset:         32
        .size:           8
        .value_kind:     global_buffer
      - .actual_access:  read_only
        .address_space:  global
        .offset:         40
        .size:           8
        .value_kind:     global_buffer
      - .offset:         48
        .size:           8
        .value_kind:     by_value
      - .actual_access:  read_only
        .address_space:  global
        .offset:         56
        .size:           8
        .value_kind:     global_buffer
      - .actual_access:  read_only
        .address_space:  global
        .offset:         64
        .size:           8
        .value_kind:     global_buffer
      - .actual_access:  read_only
        .address_space:  global
        .offset:         72
        .size:           8
        .value_kind:     global_buffer
      - .actual_access:  read_only
        .address_space:  global
        .offset:         80
        .size:           8
        .value_kind:     global_buffer
      - .actual_access:  write_only
        .address_space:  global
        .offset:         88
        .size:           8
        .value_kind:     global_buffer
      - .actual_access:  write_only
        .address_space:  global
        .offset:         96
        .size:           8
        .value_kind:     global_buffer
      - .offset:         104
        .size:           4
        .value_kind:     by_value
      - .offset:         108
        .size:           4
        .value_kind:     by_value
      - .offset:         112
        .size:           4
        .value_kind:     by_value
      - .offset:         116
        .size:           1
        .value_kind:     by_value
    .group_segment_fixed_size: 2056
    .kernarg_segment_align: 8
    .kernarg_segment_size: 120
    .language:       OpenCL C
    .language_version:
      - 2
      - 0
    .max_flat_workgroup_size: 256
    .name:           _ZN9rocsparseL39bsrgeam_block_per_row_multipass_kernel2ILj256ELj16EdEEv20rocsparse_direction_iiiNS_24const_host_device_scalarIT1_EEPKiS6_PKS3_S4_S6_S6_S8_S6_PiPS3_21rocsparse_index_base_SB_SB_b
    .private_segment_fixed_size: 0
    .sgpr_count:     45
    .sgpr_spill_count: 0
    .symbol:         _ZN9rocsparseL39bsrgeam_block_per_row_multipass_kernel2ILj256ELj16EdEEv20rocsparse_direction_iiiNS_24const_host_device_scalarIT1_EEPKiS6_PKS3_S4_S6_S6_S8_S6_PiPS3_21rocsparse_index_base_SB_SB_b.kd
    .uniform_work_group_size: 1
    .uses_dynamic_stack: false
    .vgpr_count:     32
    .vgpr_spill_count: 0
    .wavefront_size: 64
  - .agpr_count:     0
    .args:
      - .offset:         0
        .size:           4
        .value_kind:     by_value
      - .offset:         4
        .size:           4
        .value_kind:     by_value
      - .offset:         8
        .size:           4
        .value_kind:     by_value
      - .offset:         12
        .size:           4
        .value_kind:     by_value
      - .offset:         16
        .size:           8
        .value_kind:     by_value
      - .actual_access:  read_only
        .address_space:  global
        .offset:         24
        .size:           8
        .value_kind:     global_buffer
      - .actual_access:  read_only
        .address_space:  global
        .offset:         32
        .size:           8
        .value_kind:     global_buffer
      - .actual_access:  read_only
        .address_space:  global
        .offset:         40
        .size:           8
        .value_kind:     global_buffer
      - .offset:         48
        .size:           8
        .value_kind:     by_value
      - .actual_access:  read_only
        .address_space:  global
        .offset:         56
        .size:           8
        .value_kind:     global_buffer
      - .actual_access:  read_only
        .address_space:  global
        .offset:         64
        .size:           8
        .value_kind:     global_buffer
      - .actual_access:  read_only
        .address_space:  global
        .offset:         72
        .size:           8
        .value_kind:     global_buffer
      - .actual_access:  read_only
        .address_space:  global
        .offset:         80
        .size:           8
        .value_kind:     global_buffer
      - .actual_access:  write_only
        .address_space:  global
        .offset:         88
        .size:           8
        .value_kind:     global_buffer
      - .actual_access:  write_only
        .address_space:  global
        .offset:         96
        .size:           8
        .value_kind:     global_buffer
      - .offset:         104
        .size:           4
        .value_kind:     by_value
      - .offset:         108
        .size:           4
        .value_kind:     by_value
      - .offset:         112
        .size:           4
        .value_kind:     by_value
      - .offset:         116
        .size:           1
        .value_kind:     by_value
    .group_segment_fixed_size: 8200
    .kernarg_segment_align: 8
    .kernarg_segment_size: 120
    .language:       OpenCL C
    .language_version:
      - 2
      - 0
    .max_flat_workgroup_size: 256
    .name:           _ZN9rocsparseL39bsrgeam_block_per_row_multipass_kernel2ILj256ELj32EdEEv20rocsparse_direction_iiiNS_24const_host_device_scalarIT1_EEPKiS6_PKS3_S4_S6_S6_S8_S6_PiPS3_21rocsparse_index_base_SB_SB_b
    .private_segment_fixed_size: 0
    .sgpr_count:     51
    .sgpr_spill_count: 0
    .symbol:         _ZN9rocsparseL39bsrgeam_block_per_row_multipass_kernel2ILj256ELj32EdEEv20rocsparse_direction_iiiNS_24const_host_device_scalarIT1_EEPKiS6_PKS3_S4_S6_S6_S8_S6_PiPS3_21rocsparse_index_base_SB_SB_b.kd
    .uniform_work_group_size: 1
    .uses_dynamic_stack: false
    .vgpr_count:     34
    .vgpr_spill_count: 0
    .wavefront_size: 64
  - .agpr_count:     0
    .args:
      - .offset:         0
        .size:           4
        .value_kind:     by_value
      - .offset:         4
        .size:           4
        .value_kind:     by_value
      - .offset:         8
        .size:           4
        .value_kind:     by_value
      - .offset:         12
        .size:           4
        .value_kind:     by_value
      - .offset:         16
        .size:           8
        .value_kind:     by_value
      - .actual_access:  read_only
        .address_space:  global
        .offset:         24
        .size:           8
        .value_kind:     global_buffer
      - .actual_access:  read_only
        .address_space:  global
        .offset:         32
        .size:           8
        .value_kind:     global_buffer
      - .actual_access:  read_only
        .address_space:  global
        .offset:         40
        .size:           8
        .value_kind:     global_buffer
      - .offset:         48
        .size:           8
        .value_kind:     by_value
      - .actual_access:  read_only
        .address_space:  global
        .offset:         56
        .size:           8
        .value_kind:     global_buffer
      - .actual_access:  read_only
        .address_space:  global
        .offset:         64
        .size:           8
        .value_kind:     global_buffer
      - .actual_access:  read_only
        .address_space:  global
        .offset:         72
        .size:           8
        .value_kind:     global_buffer
      - .actual_access:  read_only
        .address_space:  global
        .offset:         80
        .size:           8
        .value_kind:     global_buffer
      - .actual_access:  write_only
        .address_space:  global
        .offset:         88
        .size:           8
        .value_kind:     global_buffer
      - .actual_access:  write_only
        .address_space:  global
        .offset:         96
        .size:           8
        .value_kind:     global_buffer
      - .offset:         104
        .size:           4
        .value_kind:     by_value
      - .offset:         108
        .size:           4
        .value_kind:     by_value
      - .offset:         112
        .size:           4
        .value_kind:     by_value
      - .offset:         116
        .size:           1
        .value_kind:     by_value
    .group_segment_fixed_size: 8448
    .kernarg_segment_align: 8
    .kernarg_segment_size: 120
    .language:       OpenCL C
    .language_version:
      - 2
      - 0
    .max_flat_workgroup_size: 256
    .name:           _ZN9rocsparseL39bsrgeam_wf_per_row_multipass_2_3_kernelILj256ELj2ELj32E21rocsparse_complex_numIfEEEv20rocsparse_direction_iiiNS_24const_host_device_scalarIT2_EEPKiS8_PKS5_S6_S8_S8_SA_S8_PiPS5_21rocsparse_index_base_SD_SD_b
    .private_segment_fixed_size: 0
    .sgpr_count:     44
    .sgpr_spill_count: 0
    .symbol:         _ZN9rocsparseL39bsrgeam_wf_per_row_multipass_2_3_kernelILj256ELj2ELj32E21rocsparse_complex_numIfEEEv20rocsparse_direction_iiiNS_24const_host_device_scalarIT2_EEPKiS8_PKS5_S6_S8_S8_SA_S8_PiPS5_21rocsparse_index_base_SD_SD_b.kd
    .uniform_work_group_size: 1
    .uses_dynamic_stack: false
    .vgpr_count:     44
    .vgpr_spill_count: 0
    .wavefront_size: 64
  - .agpr_count:     0
    .args:
      - .offset:         0
        .size:           4
        .value_kind:     by_value
      - .offset:         4
        .size:           4
        .value_kind:     by_value
      - .offset:         8
        .size:           4
        .value_kind:     by_value
      - .offset:         12
        .size:           4
        .value_kind:     by_value
      - .offset:         16
        .size:           8
        .value_kind:     by_value
      - .actual_access:  read_only
        .address_space:  global
        .offset:         24
        .size:           8
        .value_kind:     global_buffer
      - .actual_access:  read_only
        .address_space:  global
        .offset:         32
        .size:           8
        .value_kind:     global_buffer
      - .actual_access:  read_only
        .address_space:  global
        .offset:         40
        .size:           8
        .value_kind:     global_buffer
      - .offset:         48
        .size:           8
        .value_kind:     by_value
      - .actual_access:  read_only
        .address_space:  global
        .offset:         56
        .size:           8
        .value_kind:     global_buffer
      - .actual_access:  read_only
        .address_space:  global
        .offset:         64
        .size:           8
        .value_kind:     global_buffer
      - .actual_access:  read_only
        .address_space:  global
        .offset:         72
        .size:           8
        .value_kind:     global_buffer
      - .actual_access:  read_only
        .address_space:  global
        .offset:         80
        .size:           8
        .value_kind:     global_buffer
      - .actual_access:  write_only
        .address_space:  global
        .offset:         88
        .size:           8
        .value_kind:     global_buffer
      - .actual_access:  write_only
        .address_space:  global
        .offset:         96
        .size:           8
        .value_kind:     global_buffer
      - .offset:         104
        .size:           4
        .value_kind:     by_value
      - .offset:         108
        .size:           4
        .value_kind:     by_value
      - .offset:         112
        .size:           4
        .value_kind:     by_value
      - .offset:         116
        .size:           1
        .value_kind:     by_value
    .group_segment_fixed_size: 8448
    .kernarg_segment_align: 8
    .kernarg_segment_size: 120
    .language:       OpenCL C
    .language_version:
      - 2
      - 0
    .max_flat_workgroup_size: 256
    .name:           _ZN9rocsparseL39bsrgeam_wf_per_row_multipass_2_3_kernelILj256ELj2ELj64E21rocsparse_complex_numIfEEEv20rocsparse_direction_iiiNS_24const_host_device_scalarIT2_EEPKiS8_PKS5_S6_S8_S8_SA_S8_PiPS5_21rocsparse_index_base_SD_SD_b
    .private_segment_fixed_size: 0
    .sgpr_count:     44
    .sgpr_spill_count: 0
    .symbol:         _ZN9rocsparseL39bsrgeam_wf_per_row_multipass_2_3_kernelILj256ELj2ELj64E21rocsparse_complex_numIfEEEv20rocsparse_direction_iiiNS_24const_host_device_scalarIT2_EEPKiS8_PKS5_S6_S8_S8_SA_S8_PiPS5_21rocsparse_index_base_SD_SD_b.kd
    .uniform_work_group_size: 1
    .uses_dynamic_stack: false
    .vgpr_count:     46
    .vgpr_spill_count: 0
    .wavefront_size: 64
  - .agpr_count:     0
    .args:
      - .offset:         0
        .size:           4
        .value_kind:     by_value
      - .offset:         4
        .size:           4
        .value_kind:     by_value
      - .offset:         8
        .size:           4
        .value_kind:     by_value
      - .offset:         12
        .size:           4
        .value_kind:     by_value
      - .offset:         16
        .size:           8
        .value_kind:     by_value
      - .actual_access:  read_only
        .address_space:  global
        .offset:         24
        .size:           8
        .value_kind:     global_buffer
      - .actual_access:  read_only
        .address_space:  global
        .offset:         32
        .size:           8
        .value_kind:     global_buffer
      - .actual_access:  read_only
        .address_space:  global
        .offset:         40
        .size:           8
        .value_kind:     global_buffer
      - .offset:         48
        .size:           8
        .value_kind:     by_value
      - .actual_access:  read_only
        .address_space:  global
        .offset:         56
        .size:           8
        .value_kind:     global_buffer
      - .actual_access:  read_only
        .address_space:  global
        .offset:         64
        .size:           8
        .value_kind:     global_buffer
      - .actual_access:  read_only
        .address_space:  global
        .offset:         72
        .size:           8
        .value_kind:     global_buffer
      - .actual_access:  read_only
        .address_space:  global
        .offset:         80
        .size:           8
        .value_kind:     global_buffer
      - .actual_access:  write_only
        .address_space:  global
        .offset:         88
        .size:           8
        .value_kind:     global_buffer
      - .actual_access:  write_only
        .address_space:  global
        .offset:         96
        .size:           8
        .value_kind:     global_buffer
      - .offset:         104
        .size:           4
        .value_kind:     by_value
      - .offset:         108
        .size:           4
        .value_kind:     by_value
      - .offset:         112
        .size:           4
        .value_kind:     by_value
      - .offset:         116
        .size:           1
        .value_kind:     by_value
    .group_segment_fixed_size: 18688
    .kernarg_segment_align: 8
    .kernarg_segment_size: 120
    .language:       OpenCL C
    .language_version:
      - 2
      - 0
    .max_flat_workgroup_size: 256
    .name:           _ZN9rocsparseL39bsrgeam_wf_per_row_multipass_2_3_kernelILj256ELj3ELj32E21rocsparse_complex_numIfEEEv20rocsparse_direction_iiiNS_24const_host_device_scalarIT2_EEPKiS8_PKS5_S6_S8_S8_SA_S8_PiPS5_21rocsparse_index_base_SD_SD_b
    .private_segment_fixed_size: 0
    .sgpr_count:     49
    .sgpr_spill_count: 0
    .symbol:         _ZN9rocsparseL39bsrgeam_wf_per_row_multipass_2_3_kernelILj256ELj3ELj32E21rocsparse_complex_numIfEEEv20rocsparse_direction_iiiNS_24const_host_device_scalarIT2_EEPKiS8_PKS5_S6_S8_S8_SA_S8_PiPS5_21rocsparse_index_base_SD_SD_b.kd
    .uniform_work_group_size: 1
    .uses_dynamic_stack: false
    .vgpr_count:     78
    .vgpr_spill_count: 0
    .wavefront_size: 64
  - .agpr_count:     0
    .args:
      - .offset:         0
        .size:           4
        .value_kind:     by_value
      - .offset:         4
        .size:           4
        .value_kind:     by_value
      - .offset:         8
        .size:           4
        .value_kind:     by_value
      - .offset:         12
        .size:           4
        .value_kind:     by_value
      - .offset:         16
        .size:           8
        .value_kind:     by_value
      - .actual_access:  read_only
        .address_space:  global
        .offset:         24
        .size:           8
        .value_kind:     global_buffer
      - .actual_access:  read_only
        .address_space:  global
        .offset:         32
        .size:           8
        .value_kind:     global_buffer
      - .actual_access:  read_only
        .address_space:  global
        .offset:         40
        .size:           8
        .value_kind:     global_buffer
      - .offset:         48
        .size:           8
        .value_kind:     by_value
      - .actual_access:  read_only
        .address_space:  global
        .offset:         56
        .size:           8
        .value_kind:     global_buffer
      - .actual_access:  read_only
        .address_space:  global
        .offset:         64
        .size:           8
        .value_kind:     global_buffer
      - .actual_access:  read_only
        .address_space:  global
        .offset:         72
        .size:           8
        .value_kind:     global_buffer
      - .actual_access:  read_only
        .address_space:  global
        .offset:         80
        .size:           8
        .value_kind:     global_buffer
      - .actual_access:  write_only
        .address_space:  global
        .offset:         88
        .size:           8
        .value_kind:     global_buffer
      - .actual_access:  write_only
        .address_space:  global
        .offset:         96
        .size:           8
        .value_kind:     global_buffer
      - .offset:         104
        .size:           4
        .value_kind:     by_value
      - .offset:         108
        .size:           4
        .value_kind:     by_value
      - .offset:         112
        .size:           4
        .value_kind:     by_value
      - .offset:         116
        .size:           1
        .value_kind:     by_value
    .group_segment_fixed_size: 18688
    .kernarg_segment_align: 8
    .kernarg_segment_size: 120
    .language:       OpenCL C
    .language_version:
      - 2
      - 0
    .max_flat_workgroup_size: 256
    .name:           _ZN9rocsparseL39bsrgeam_wf_per_row_multipass_2_3_kernelILj256ELj3ELj64E21rocsparse_complex_numIfEEEv20rocsparse_direction_iiiNS_24const_host_device_scalarIT2_EEPKiS8_PKS5_S6_S8_S8_SA_S8_PiPS5_21rocsparse_index_base_SD_SD_b
    .private_segment_fixed_size: 0
    .sgpr_count:     49
    .sgpr_spill_count: 0
    .symbol:         _ZN9rocsparseL39bsrgeam_wf_per_row_multipass_2_3_kernelILj256ELj3ELj64E21rocsparse_complex_numIfEEEv20rocsparse_direction_iiiNS_24const_host_device_scalarIT2_EEPKiS8_PKS5_S6_S8_S8_SA_S8_PiPS5_21rocsparse_index_base_SD_SD_b.kd
    .uniform_work_group_size: 1
    .uses_dynamic_stack: false
    .vgpr_count:     80
    .vgpr_spill_count: 0
    .wavefront_size: 64
  - .agpr_count:     0
    .args:
      - .offset:         0
        .size:           4
        .value_kind:     by_value
      - .offset:         4
        .size:           4
        .value_kind:     by_value
      - .offset:         8
        .size:           4
        .value_kind:     by_value
      - .offset:         12
        .size:           4
        .value_kind:     by_value
      - .offset:         16
        .size:           8
        .value_kind:     by_value
      - .actual_access:  read_only
        .address_space:  global
        .offset:         24
        .size:           8
        .value_kind:     global_buffer
      - .actual_access:  read_only
        .address_space:  global
        .offset:         32
        .size:           8
        .value_kind:     global_buffer
      - .actual_access:  read_only
        .address_space:  global
        .offset:         40
        .size:           8
        .value_kind:     global_buffer
      - .offset:         48
        .size:           8
        .value_kind:     by_value
      - .actual_access:  read_only
        .address_space:  global
        .offset:         56
        .size:           8
        .value_kind:     global_buffer
      - .actual_access:  read_only
        .address_space:  global
        .offset:         64
        .size:           8
        .value_kind:     global_buffer
      - .actual_access:  read_only
        .address_space:  global
        .offset:         72
        .size:           8
        .value_kind:     global_buffer
      - .actual_access:  read_only
        .address_space:  global
        .offset:         80
        .size:           8
        .value_kind:     global_buffer
      - .actual_access:  write_only
        .address_space:  global
        .offset:         88
        .size:           8
        .value_kind:     global_buffer
      - .actual_access:  write_only
        .address_space:  global
        .offset:         96
        .size:           8
        .value_kind:     global_buffer
      - .offset:         104
        .size:           4
        .value_kind:     by_value
      - .offset:         108
        .size:           4
        .value_kind:     by_value
      - .offset:         112
        .size:           4
        .value_kind:     by_value
      - .offset:         116
        .size:           1
        .value_kind:     by_value
    .group_segment_fixed_size: 544
    .kernarg_segment_align: 8
    .kernarg_segment_size: 120
    .language:       OpenCL C
    .language_version:
      - 2
      - 0
    .max_flat_workgroup_size: 64
    .name:           _ZN9rocsparseL35bsrgeam_wf_per_row_multipass_kernelILj64ELj4E21rocsparse_complex_numIfEEEv20rocsparse_direction_iiiNS_24const_host_device_scalarIT1_EEPKiS8_PKS5_S6_S8_S8_SA_S8_PiPS5_21rocsparse_index_base_SD_SD_b
    .private_segment_fixed_size: 0
    .sgpr_count:     50
    .sgpr_spill_count: 0
    .symbol:         _ZN9rocsparseL35bsrgeam_wf_per_row_multipass_kernelILj64ELj4E21rocsparse_complex_numIfEEEv20rocsparse_direction_iiiNS_24const_host_device_scalarIT1_EEPKiS8_PKS5_S6_S8_S8_SA_S8_PiPS5_21rocsparse_index_base_SD_SD_b.kd
    .uniform_work_group_size: 1
    .uses_dynamic_stack: false
    .vgpr_count:     32
    .vgpr_spill_count: 0
    .wavefront_size: 64
  - .agpr_count:     0
    .args:
      - .offset:         0
        .size:           4
        .value_kind:     by_value
      - .offset:         4
        .size:           4
        .value_kind:     by_value
      - .offset:         8
        .size:           4
        .value_kind:     by_value
      - .offset:         12
        .size:           4
        .value_kind:     by_value
      - .offset:         16
        .size:           8
        .value_kind:     by_value
      - .actual_access:  read_only
        .address_space:  global
        .offset:         24
        .size:           8
        .value_kind:     global_buffer
      - .actual_access:  read_only
        .address_space:  global
        .offset:         32
        .size:           8
        .value_kind:     global_buffer
      - .actual_access:  read_only
        .address_space:  global
        .offset:         40
        .size:           8
        .value_kind:     global_buffer
      - .offset:         48
        .size:           8
        .value_kind:     by_value
      - .actual_access:  read_only
        .address_space:  global
        .offset:         56
        .size:           8
        .value_kind:     global_buffer
      - .actual_access:  read_only
        .address_space:  global
        .offset:         64
        .size:           8
        .value_kind:     global_buffer
      - .actual_access:  read_only
        .address_space:  global
        .offset:         72
        .size:           8
        .value_kind:     global_buffer
      - .actual_access:  read_only
        .address_space:  global
        .offset:         80
        .size:           8
        .value_kind:     global_buffer
      - .actual_access:  write_only
        .address_space:  global
        .offset:         88
        .size:           8
        .value_kind:     global_buffer
      - .actual_access:  write_only
        .address_space:  global
        .offset:         96
        .size:           8
        .value_kind:     global_buffer
      - .offset:         104
        .size:           4
        .value_kind:     by_value
      - .offset:         108
        .size:           4
        .value_kind:     by_value
      - .offset:         112
        .size:           4
        .value_kind:     by_value
      - .offset:         116
        .size:           1
        .value_kind:     by_value
    .group_segment_fixed_size: 520
    .kernarg_segment_align: 8
    .kernarg_segment_size: 120
    .language:       OpenCL C
    .language_version:
      - 2
      - 0
    .max_flat_workgroup_size: 64
    .name:           _ZN9rocsparseL35bsrgeam_wf_per_row_multipass_kernelILj64ELj8E21rocsparse_complex_numIfEEEv20rocsparse_direction_iiiNS_24const_host_device_scalarIT1_EEPKiS8_PKS5_S6_S8_S8_SA_S8_PiPS5_21rocsparse_index_base_SD_SD_b
    .private_segment_fixed_size: 0
    .sgpr_count:     46
    .sgpr_spill_count: 0
    .symbol:         _ZN9rocsparseL35bsrgeam_wf_per_row_multipass_kernelILj64ELj8E21rocsparse_complex_numIfEEEv20rocsparse_direction_iiiNS_24const_host_device_scalarIT1_EEPKiS8_PKS5_S6_S8_S8_SA_S8_PiPS5_21rocsparse_index_base_SD_SD_b.kd
    .uniform_work_group_size: 1
    .uses_dynamic_stack: false
    .vgpr_count:     32
    .vgpr_spill_count: 0
    .wavefront_size: 64
  - .agpr_count:     0
    .args:
      - .offset:         0
        .size:           4
        .value_kind:     by_value
      - .offset:         4
        .size:           4
        .value_kind:     by_value
      - .offset:         8
        .size:           4
        .value_kind:     by_value
      - .offset:         12
        .size:           4
        .value_kind:     by_value
      - .offset:         16
        .size:           8
        .value_kind:     by_value
      - .actual_access:  read_only
        .address_space:  global
        .offset:         24
        .size:           8
        .value_kind:     global_buffer
      - .actual_access:  read_only
        .address_space:  global
        .offset:         32
        .size:           8
        .value_kind:     global_buffer
      - .actual_access:  read_only
        .address_space:  global
        .offset:         40
        .size:           8
        .value_kind:     global_buffer
      - .offset:         48
        .size:           8
        .value_kind:     by_value
      - .actual_access:  read_only
        .address_space:  global
        .offset:         56
        .size:           8
        .value_kind:     global_buffer
      - .actual_access:  read_only
        .address_space:  global
        .offset:         64
        .size:           8
        .value_kind:     global_buffer
      - .actual_access:  read_only
        .address_space:  global
        .offset:         72
        .size:           8
        .value_kind:     global_buffer
      - .actual_access:  read_only
        .address_space:  global
        .offset:         80
        .size:           8
        .value_kind:     global_buffer
      - .actual_access:  write_only
        .address_space:  global
        .offset:         88
        .size:           8
        .value_kind:     global_buffer
      - .actual_access:  write_only
        .address_space:  global
        .offset:         96
        .size:           8
        .value_kind:     global_buffer
      - .offset:         104
        .size:           4
        .value_kind:     by_value
      - .offset:         108
        .size:           4
        .value_kind:     by_value
      - .offset:         112
        .size:           4
        .value_kind:     by_value
      - .offset:         116
        .size:           1
        .value_kind:     by_value
    .group_segment_fixed_size: 2052
    .kernarg_segment_align: 8
    .kernarg_segment_size: 120
    .language:       OpenCL C
    .language_version:
      - 2
      - 0
    .max_flat_workgroup_size: 256
    .name:           _ZN9rocsparseL39bsrgeam_block_per_row_multipass_kernel2ILj256ELj16E21rocsparse_complex_numIfEEEv20rocsparse_direction_iiiNS_24const_host_device_scalarIT1_EEPKiS8_PKS5_S6_S8_S8_SA_S8_PiPS5_21rocsparse_index_base_SD_SD_b
    .private_segment_fixed_size: 0
    .sgpr_count:     53
    .sgpr_spill_count: 0
    .symbol:         _ZN9rocsparseL39bsrgeam_block_per_row_multipass_kernel2ILj256ELj16E21rocsparse_complex_numIfEEEv20rocsparse_direction_iiiNS_24const_host_device_scalarIT1_EEPKiS8_PKS5_S6_S8_S8_SA_S8_PiPS5_21rocsparse_index_base_SD_SD_b.kd
    .uniform_work_group_size: 1
    .uses_dynamic_stack: false
    .vgpr_count:     28
    .vgpr_spill_count: 0
    .wavefront_size: 64
  - .agpr_count:     0
    .args:
      - .offset:         0
        .size:           4
        .value_kind:     by_value
      - .offset:         4
        .size:           4
        .value_kind:     by_value
      - .offset:         8
        .size:           4
        .value_kind:     by_value
      - .offset:         12
        .size:           4
        .value_kind:     by_value
      - .offset:         16
        .size:           8
        .value_kind:     by_value
      - .actual_access:  read_only
        .address_space:  global
        .offset:         24
        .size:           8
        .value_kind:     global_buffer
      - .actual_access:  read_only
        .address_space:  global
        .offset:         32
        .size:           8
        .value_kind:     global_buffer
      - .actual_access:  read_only
        .address_space:  global
        .offset:         40
        .size:           8
        .value_kind:     global_buffer
      - .offset:         48
        .size:           8
        .value_kind:     by_value
      - .actual_access:  read_only
        .address_space:  global
        .offset:         56
        .size:           8
        .value_kind:     global_buffer
      - .actual_access:  read_only
        .address_space:  global
        .offset:         64
        .size:           8
        .value_kind:     global_buffer
      - .actual_access:  read_only
        .address_space:  global
        .offset:         72
        .size:           8
        .value_kind:     global_buffer
      - .actual_access:  read_only
        .address_space:  global
        .offset:         80
        .size:           8
        .value_kind:     global_buffer
      - .actual_access:  write_only
        .address_space:  global
        .offset:         88
        .size:           8
        .value_kind:     global_buffer
      - .actual_access:  write_only
        .address_space:  global
        .offset:         96
        .size:           8
        .value_kind:     global_buffer
      - .offset:         104
        .size:           4
        .value_kind:     by_value
      - .offset:         108
        .size:           4
        .value_kind:     by_value
      - .offset:         112
        .size:           4
        .value_kind:     by_value
      - .offset:         116
        .size:           1
        .value_kind:     by_value
    .group_segment_fixed_size: 8196
    .kernarg_segment_align: 8
    .kernarg_segment_size: 120
    .language:       OpenCL C
    .language_version:
      - 2
      - 0
    .max_flat_workgroup_size: 256
    .name:           _ZN9rocsparseL39bsrgeam_block_per_row_multipass_kernel2ILj256ELj32E21rocsparse_complex_numIfEEEv20rocsparse_direction_iiiNS_24const_host_device_scalarIT1_EEPKiS8_PKS5_S6_S8_S8_SA_S8_PiPS5_21rocsparse_index_base_SD_SD_b
    .private_segment_fixed_size: 0
    .sgpr_count:     59
    .sgpr_spill_count: 0
    .symbol:         _ZN9rocsparseL39bsrgeam_block_per_row_multipass_kernel2ILj256ELj32E21rocsparse_complex_numIfEEEv20rocsparse_direction_iiiNS_24const_host_device_scalarIT1_EEPKiS8_PKS5_S6_S8_S8_SA_S8_PiPS5_21rocsparse_index_base_SD_SD_b.kd
    .uniform_work_group_size: 1
    .uses_dynamic_stack: false
    .vgpr_count:     30
    .vgpr_spill_count: 0
    .wavefront_size: 64
  - .agpr_count:     0
    .args:
      - .offset:         0
        .size:           4
        .value_kind:     by_value
      - .offset:         4
        .size:           4
        .value_kind:     by_value
      - .offset:         8
        .size:           4
        .value_kind:     by_value
      - .offset:         12
        .size:           4
        .value_kind:     by_value
      - .offset:         16
        .size:           16
        .value_kind:     by_value
      - .actual_access:  read_only
        .address_space:  global
        .offset:         32
        .size:           8
        .value_kind:     global_buffer
      - .actual_access:  read_only
        .address_space:  global
        .offset:         40
        .size:           8
        .value_kind:     global_buffer
      - .actual_access:  read_only
        .address_space:  global
        .offset:         48
        .size:           8
        .value_kind:     global_buffer
      - .offset:         56
        .size:           16
        .value_kind:     by_value
      - .actual_access:  read_only
        .address_space:  global
        .offset:         72
        .size:           8
        .value_kind:     global_buffer
      - .actual_access:  read_only
        .address_space:  global
        .offset:         80
        .size:           8
        .value_kind:     global_buffer
      - .actual_access:  read_only
        .address_space:  global
        .offset:         88
        .size:           8
        .value_kind:     global_buffer
      - .actual_access:  read_only
        .address_space:  global
        .offset:         96
        .size:           8
        .value_kind:     global_buffer
      - .actual_access:  write_only
        .address_space:  global
        .offset:         104
        .size:           8
        .value_kind:     global_buffer
      - .actual_access:  write_only
        .address_space:  global
        .offset:         112
        .size:           8
        .value_kind:     global_buffer
      - .offset:         120
        .size:           4
        .value_kind:     by_value
      - .offset:         124
        .size:           4
        .value_kind:     by_value
      - .offset:         128
        .size:           4
        .value_kind:     by_value
      - .offset:         132
        .size:           1
        .value_kind:     by_value
    .group_segment_fixed_size: 20736
    .kernarg_segment_align: 8
    .kernarg_segment_size: 136
    .language:       OpenCL C
    .language_version:
      - 2
      - 0
    .max_flat_workgroup_size: 256
    .name:           _ZN9rocsparseL39bsrgeam_wf_per_row_multipass_2_3_kernelILj256ELj2ELj32E21rocsparse_complex_numIdEEEv20rocsparse_direction_iiiNS_24const_host_device_scalarIT2_EEPKiS8_PKS5_S6_S8_S8_SA_S8_PiPS5_21rocsparse_index_base_SD_SD_b
    .private_segment_fixed_size: 0
    .sgpr_count:     34
    .sgpr_spill_count: 0
    .symbol:         _ZN9rocsparseL39bsrgeam_wf_per_row_multipass_2_3_kernelILj256ELj2ELj32E21rocsparse_complex_numIdEEEv20rocsparse_direction_iiiNS_24const_host_device_scalarIT2_EEPKiS8_PKS5_S6_S8_S8_SA_S8_PiPS5_21rocsparse_index_base_SD_SD_b.kd
    .uniform_work_group_size: 1
    .uses_dynamic_stack: false
    .vgpr_count:     68
    .vgpr_spill_count: 0
    .wavefront_size: 64
  - .agpr_count:     0
    .args:
      - .offset:         0
        .size:           4
        .value_kind:     by_value
      - .offset:         4
        .size:           4
        .value_kind:     by_value
      - .offset:         8
        .size:           4
        .value_kind:     by_value
      - .offset:         12
        .size:           4
        .value_kind:     by_value
      - .offset:         16
        .size:           16
        .value_kind:     by_value
      - .actual_access:  read_only
        .address_space:  global
        .offset:         32
        .size:           8
        .value_kind:     global_buffer
      - .actual_access:  read_only
        .address_space:  global
        .offset:         40
        .size:           8
        .value_kind:     global_buffer
      - .actual_access:  read_only
        .address_space:  global
        .offset:         48
        .size:           8
        .value_kind:     global_buffer
      - .offset:         56
        .size:           16
        .value_kind:     by_value
      - .actual_access:  read_only
        .address_space:  global
        .offset:         72
        .size:           8
        .value_kind:     global_buffer
      - .actual_access:  read_only
        .address_space:  global
        .offset:         80
        .size:           8
        .value_kind:     global_buffer
      - .actual_access:  read_only
        .address_space:  global
        .offset:         88
        .size:           8
        .value_kind:     global_buffer
      - .actual_access:  read_only
        .address_space:  global
        .offset:         96
        .size:           8
        .value_kind:     global_buffer
      - .actual_access:  write_only
        .address_space:  global
        .offset:         104
        .size:           8
        .value_kind:     global_buffer
      - .actual_access:  write_only
        .address_space:  global
        .offset:         112
        .size:           8
        .value_kind:     global_buffer
      - .offset:         120
        .size:           4
        .value_kind:     by_value
      - .offset:         124
        .size:           4
        .value_kind:     by_value
      - .offset:         128
        .size:           4
        .value_kind:     by_value
      - .offset:         132
        .size:           1
        .value_kind:     by_value
    .group_segment_fixed_size: 20736
    .kernarg_segment_align: 8
    .kernarg_segment_size: 136
    .language:       OpenCL C
    .language_version:
      - 2
      - 0
    .max_flat_workgroup_size: 256
    .name:           _ZN9rocsparseL39bsrgeam_wf_per_row_multipass_2_3_kernelILj256ELj2ELj64E21rocsparse_complex_numIdEEEv20rocsparse_direction_iiiNS_24const_host_device_scalarIT2_EEPKiS8_PKS5_S6_S8_S8_SA_S8_PiPS5_21rocsparse_index_base_SD_SD_b
    .private_segment_fixed_size: 0
    .sgpr_count:     34
    .sgpr_spill_count: 0
    .symbol:         _ZN9rocsparseL39bsrgeam_wf_per_row_multipass_2_3_kernelILj256ELj2ELj64E21rocsparse_complex_numIdEEEv20rocsparse_direction_iiiNS_24const_host_device_scalarIT2_EEPKiS8_PKS5_S6_S8_S8_SA_S8_PiPS5_21rocsparse_index_base_SD_SD_b.kd
    .uniform_work_group_size: 1
    .uses_dynamic_stack: false
    .vgpr_count:     70
    .vgpr_spill_count: 0
    .wavefront_size: 64
  - .agpr_count:     0
    .args:
      - .offset:         0
        .size:           4
        .value_kind:     by_value
      - .offset:         4
        .size:           4
        .value_kind:     by_value
      - .offset:         8
        .size:           4
        .value_kind:     by_value
      - .offset:         12
        .size:           4
        .value_kind:     by_value
      - .offset:         16
        .size:           16
        .value_kind:     by_value
      - .actual_access:  read_only
        .address_space:  global
        .offset:         32
        .size:           8
        .value_kind:     global_buffer
      - .actual_access:  read_only
        .address_space:  global
        .offset:         40
        .size:           8
        .value_kind:     global_buffer
      - .actual_access:  read_only
        .address_space:  global
        .offset:         48
        .size:           8
        .value_kind:     global_buffer
      - .offset:         56
        .size:           16
        .value_kind:     by_value
      - .actual_access:  read_only
        .address_space:  global
        .offset:         72
        .size:           8
        .value_kind:     global_buffer
      - .actual_access:  read_only
        .address_space:  global
        .offset:         80
        .size:           8
        .value_kind:     global_buffer
      - .actual_access:  read_only
        .address_space:  global
        .offset:         88
        .size:           8
        .value_kind:     global_buffer
      - .actual_access:  read_only
        .address_space:  global
        .offset:         96
        .size:           8
        .value_kind:     global_buffer
      - .actual_access:  write_only
        .address_space:  global
        .offset:         104
        .size:           8
        .value_kind:     global_buffer
      - .actual_access:  write_only
        .address_space:  global
        .offset:         112
        .size:           8
        .value_kind:     global_buffer
      - .offset:         120
        .size:           4
        .value_kind:     by_value
      - .offset:         124
        .size:           4
        .value_kind:     by_value
      - .offset:         128
        .size:           4
        .value_kind:     by_value
      - .offset:         132
        .size:           1
        .value_kind:     by_value
    .group_segment_fixed_size: 41216
    .kernarg_segment_align: 8
    .kernarg_segment_size: 136
    .language:       OpenCL C
    .language_version:
      - 2
      - 0
    .max_flat_workgroup_size: 256
    .name:           _ZN9rocsparseL39bsrgeam_wf_per_row_multipass_2_3_kernelILj256ELj3ELj32E21rocsparse_complex_numIdEEEv20rocsparse_direction_iiiNS_24const_host_device_scalarIT2_EEPKiS8_PKS5_S6_S8_S8_SA_S8_PiPS5_21rocsparse_index_base_SD_SD_b
    .private_segment_fixed_size: 0
    .sgpr_count:     34
    .sgpr_spill_count: 0
    .symbol:         _ZN9rocsparseL39bsrgeam_wf_per_row_multipass_2_3_kernelILj256ELj3ELj32E21rocsparse_complex_numIdEEEv20rocsparse_direction_iiiNS_24const_host_device_scalarIT2_EEPKiS8_PKS5_S6_S8_S8_SA_S8_PiPS5_21rocsparse_index_base_SD_SD_b.kd
    .uniform_work_group_size: 1
    .uses_dynamic_stack: false
    .vgpr_count:     114
    .vgpr_spill_count: 0
    .wavefront_size: 64
  - .agpr_count:     0
    .args:
      - .offset:         0
        .size:           4
        .value_kind:     by_value
      - .offset:         4
        .size:           4
        .value_kind:     by_value
      - .offset:         8
        .size:           4
        .value_kind:     by_value
      - .offset:         12
        .size:           4
        .value_kind:     by_value
      - .offset:         16
        .size:           16
        .value_kind:     by_value
      - .actual_access:  read_only
        .address_space:  global
        .offset:         32
        .size:           8
        .value_kind:     global_buffer
      - .actual_access:  read_only
        .address_space:  global
        .offset:         40
        .size:           8
        .value_kind:     global_buffer
      - .actual_access:  read_only
        .address_space:  global
        .offset:         48
        .size:           8
        .value_kind:     global_buffer
      - .offset:         56
        .size:           16
        .value_kind:     by_value
      - .actual_access:  read_only
        .address_space:  global
        .offset:         72
        .size:           8
        .value_kind:     global_buffer
      - .actual_access:  read_only
        .address_space:  global
        .offset:         80
        .size:           8
        .value_kind:     global_buffer
      - .actual_access:  read_only
        .address_space:  global
        .offset:         88
        .size:           8
        .value_kind:     global_buffer
      - .actual_access:  read_only
        .address_space:  global
        .offset:         96
        .size:           8
        .value_kind:     global_buffer
      - .actual_access:  write_only
        .address_space:  global
        .offset:         104
        .size:           8
        .value_kind:     global_buffer
      - .actual_access:  write_only
        .address_space:  global
        .offset:         112
        .size:           8
        .value_kind:     global_buffer
      - .offset:         120
        .size:           4
        .value_kind:     by_value
      - .offset:         124
        .size:           4
        .value_kind:     by_value
      - .offset:         128
        .size:           4
        .value_kind:     by_value
      - .offset:         132
        .size:           1
        .value_kind:     by_value
    .group_segment_fixed_size: 41216
    .kernarg_segment_align: 8
    .kernarg_segment_size: 136
    .language:       OpenCL C
    .language_version:
      - 2
      - 0
    .max_flat_workgroup_size: 256
    .name:           _ZN9rocsparseL39bsrgeam_wf_per_row_multipass_2_3_kernelILj256ELj3ELj64E21rocsparse_complex_numIdEEEv20rocsparse_direction_iiiNS_24const_host_device_scalarIT2_EEPKiS8_PKS5_S6_S8_S8_SA_S8_PiPS5_21rocsparse_index_base_SD_SD_b
    .private_segment_fixed_size: 0
    .sgpr_count:     34
    .sgpr_spill_count: 0
    .symbol:         _ZN9rocsparseL39bsrgeam_wf_per_row_multipass_2_3_kernelILj256ELj3ELj64E21rocsparse_complex_numIdEEEv20rocsparse_direction_iiiNS_24const_host_device_scalarIT2_EEPKiS8_PKS5_S6_S8_S8_SA_S8_PiPS5_21rocsparse_index_base_SD_SD_b.kd
    .uniform_work_group_size: 1
    .uses_dynamic_stack: false
    .vgpr_count:     116
    .vgpr_spill_count: 0
    .wavefront_size: 64
  - .agpr_count:     0
    .args:
      - .offset:         0
        .size:           4
        .value_kind:     by_value
      - .offset:         4
        .size:           4
        .value_kind:     by_value
      - .offset:         8
        .size:           4
        .value_kind:     by_value
      - .offset:         12
        .size:           4
        .value_kind:     by_value
      - .offset:         16
        .size:           16
        .value_kind:     by_value
      - .actual_access:  read_only
        .address_space:  global
        .offset:         32
        .size:           8
        .value_kind:     global_buffer
      - .actual_access:  read_only
        .address_space:  global
        .offset:         40
        .size:           8
        .value_kind:     global_buffer
      - .actual_access:  read_only
        .address_space:  global
        .offset:         48
        .size:           8
        .value_kind:     global_buffer
      - .offset:         56
        .size:           16
        .value_kind:     by_value
      - .actual_access:  read_only
        .address_space:  global
        .offset:         72
        .size:           8
        .value_kind:     global_buffer
      - .actual_access:  read_only
        .address_space:  global
        .offset:         80
        .size:           8
        .value_kind:     global_buffer
      - .actual_access:  read_only
        .address_space:  global
        .offset:         88
        .size:           8
        .value_kind:     global_buffer
      - .actual_access:  read_only
        .address_space:  global
        .offset:         96
        .size:           8
        .value_kind:     global_buffer
      - .actual_access:  write_only
        .address_space:  global
        .offset:         104
        .size:           8
        .value_kind:     global_buffer
      - .actual_access:  write_only
        .address_space:  global
        .offset:         112
        .size:           8
        .value_kind:     global_buffer
      - .offset:         120
        .size:           4
        .value_kind:     by_value
      - .offset:         124
        .size:           4
        .value_kind:     by_value
      - .offset:         128
        .size:           4
        .value_kind:     by_value
      - .offset:         132
        .size:           1
        .value_kind:     by_value
    .group_segment_fixed_size: 1568
    .kernarg_segment_align: 8
    .kernarg_segment_size: 136
    .language:       OpenCL C
    .language_version:
      - 2
      - 0
    .max_flat_workgroup_size: 64
    .name:           _ZN9rocsparseL35bsrgeam_wf_per_row_multipass_kernelILj64ELj4E21rocsparse_complex_numIdEEEv20rocsparse_direction_iiiNS_24const_host_device_scalarIT1_EEPKiS8_PKS5_S6_S8_S8_SA_S8_PiPS5_21rocsparse_index_base_SD_SD_b
    .private_segment_fixed_size: 16
    .sgpr_count:     48
    .sgpr_spill_count: 0
    .symbol:         _ZN9rocsparseL35bsrgeam_wf_per_row_multipass_kernelILj64ELj4E21rocsparse_complex_numIdEEEv20rocsparse_direction_iiiNS_24const_host_device_scalarIT1_EEPKiS8_PKS5_S6_S8_S8_SA_S8_PiPS5_21rocsparse_index_base_SD_SD_b.kd
    .uniform_work_group_size: 1
    .uses_dynamic_stack: false
    .vgpr_count:     46
    .vgpr_spill_count: 0
    .wavefront_size: 64
  - .agpr_count:     0
    .args:
      - .offset:         0
        .size:           4
        .value_kind:     by_value
      - .offset:         4
        .size:           4
        .value_kind:     by_value
      - .offset:         8
        .size:           4
        .value_kind:     by_value
      - .offset:         12
        .size:           4
        .value_kind:     by_value
      - .offset:         16
        .size:           16
        .value_kind:     by_value
      - .actual_access:  read_only
        .address_space:  global
        .offset:         32
        .size:           8
        .value_kind:     global_buffer
      - .actual_access:  read_only
        .address_space:  global
        .offset:         40
        .size:           8
        .value_kind:     global_buffer
      - .actual_access:  read_only
        .address_space:  global
        .offset:         48
        .size:           8
        .value_kind:     global_buffer
      - .offset:         56
        .size:           16
        .value_kind:     by_value
      - .actual_access:  read_only
        .address_space:  global
        .offset:         72
        .size:           8
        .value_kind:     global_buffer
      - .actual_access:  read_only
        .address_space:  global
        .offset:         80
        .size:           8
        .value_kind:     global_buffer
      - .actual_access:  read_only
        .address_space:  global
        .offset:         88
        .size:           8
        .value_kind:     global_buffer
      - .actual_access:  read_only
        .address_space:  global
        .offset:         96
        .size:           8
        .value_kind:     global_buffer
      - .actual_access:  write_only
        .address_space:  global
        .offset:         104
        .size:           8
        .value_kind:     global_buffer
      - .actual_access:  write_only
        .address_space:  global
        .offset:         112
        .size:           8
        .value_kind:     global_buffer
      - .offset:         120
        .size:           4
        .value_kind:     by_value
      - .offset:         124
        .size:           4
        .value_kind:     by_value
      - .offset:         128
        .size:           4
        .value_kind:     by_value
      - .offset:         132
        .size:           1
        .value_kind:     by_value
    .group_segment_fixed_size: 1544
    .kernarg_segment_align: 8
    .kernarg_segment_size: 136
    .language:       OpenCL C
    .language_version:
      - 2
      - 0
    .max_flat_workgroup_size: 64
    .name:           _ZN9rocsparseL35bsrgeam_wf_per_row_multipass_kernelILj64ELj8E21rocsparse_complex_numIdEEEv20rocsparse_direction_iiiNS_24const_host_device_scalarIT1_EEPKiS8_PKS5_S6_S8_S8_SA_S8_PiPS5_21rocsparse_index_base_SD_SD_b
    .private_segment_fixed_size: 16
    .sgpr_count:     44
    .sgpr_spill_count: 0
    .symbol:         _ZN9rocsparseL35bsrgeam_wf_per_row_multipass_kernelILj64ELj8E21rocsparse_complex_numIdEEEv20rocsparse_direction_iiiNS_24const_host_device_scalarIT1_EEPKiS8_PKS5_S6_S8_S8_SA_S8_PiPS5_21rocsparse_index_base_SD_SD_b.kd
    .uniform_work_group_size: 1
    .uses_dynamic_stack: false
    .vgpr_count:     46
    .vgpr_spill_count: 0
    .wavefront_size: 64
  - .agpr_count:     0
    .args:
      - .offset:         0
        .size:           4
        .value_kind:     by_value
      - .offset:         4
        .size:           4
        .value_kind:     by_value
      - .offset:         8
        .size:           4
        .value_kind:     by_value
      - .offset:         12
        .size:           4
        .value_kind:     by_value
      - .offset:         16
        .size:           16
        .value_kind:     by_value
      - .actual_access:  read_only
        .address_space:  global
        .offset:         32
        .size:           8
        .value_kind:     global_buffer
      - .actual_access:  read_only
        .address_space:  global
        .offset:         40
        .size:           8
        .value_kind:     global_buffer
      - .actual_access:  read_only
        .address_space:  global
        .offset:         48
        .size:           8
        .value_kind:     global_buffer
      - .offset:         56
        .size:           16
        .value_kind:     by_value
      - .actual_access:  read_only
        .address_space:  global
        .offset:         72
        .size:           8
        .value_kind:     global_buffer
      - .actual_access:  read_only
        .address_space:  global
        .offset:         80
        .size:           8
        .value_kind:     global_buffer
      - .actual_access:  read_only
        .address_space:  global
        .offset:         88
        .size:           8
        .value_kind:     global_buffer
      - .actual_access:  read_only
        .address_space:  global
        .offset:         96
        .size:           8
        .value_kind:     global_buffer
      - .actual_access:  write_only
        .address_space:  global
        .offset:         104
        .size:           8
        .value_kind:     global_buffer
      - .actual_access:  write_only
        .address_space:  global
        .offset:         112
        .size:           8
        .value_kind:     global_buffer
      - .offset:         120
        .size:           4
        .value_kind:     by_value
      - .offset:         124
        .size:           4
        .value_kind:     by_value
      - .offset:         128
        .size:           4
        .value_kind:     by_value
      - .offset:         132
        .size:           1
        .value_kind:     by_value
    .group_segment_fixed_size: 6152
    .kernarg_segment_align: 8
    .kernarg_segment_size: 136
    .language:       OpenCL C
    .language_version:
      - 2
      - 0
    .max_flat_workgroup_size: 256
    .name:           _ZN9rocsparseL39bsrgeam_block_per_row_multipass_kernel2ILj256ELj16E21rocsparse_complex_numIdEEEv20rocsparse_direction_iiiNS_24const_host_device_scalarIT1_EEPKiS8_PKS5_S6_S8_S8_SA_S8_PiPS5_21rocsparse_index_base_SD_SD_b
    .private_segment_fixed_size: 16
    .sgpr_count:     51
    .sgpr_spill_count: 0
    .symbol:         _ZN9rocsparseL39bsrgeam_block_per_row_multipass_kernel2ILj256ELj16E21rocsparse_complex_numIdEEEv20rocsparse_direction_iiiNS_24const_host_device_scalarIT1_EEPKiS8_PKS5_S6_S8_S8_SA_S8_PiPS5_21rocsparse_index_base_SD_SD_b.kd
    .uniform_work_group_size: 1
    .uses_dynamic_stack: false
    .vgpr_count:     42
    .vgpr_spill_count: 0
    .wavefront_size: 64
  - .agpr_count:     0
    .args:
      - .offset:         0
        .size:           4
        .value_kind:     by_value
      - .offset:         4
        .size:           4
        .value_kind:     by_value
      - .offset:         8
        .size:           4
        .value_kind:     by_value
      - .offset:         12
        .size:           4
        .value_kind:     by_value
      - .offset:         16
        .size:           16
        .value_kind:     by_value
      - .actual_access:  read_only
        .address_space:  global
        .offset:         32
        .size:           8
        .value_kind:     global_buffer
      - .actual_access:  read_only
        .address_space:  global
        .offset:         40
        .size:           8
        .value_kind:     global_buffer
      - .actual_access:  read_only
        .address_space:  global
        .offset:         48
        .size:           8
        .value_kind:     global_buffer
      - .offset:         56
        .size:           16
        .value_kind:     by_value
      - .actual_access:  read_only
        .address_space:  global
        .offset:         72
        .size:           8
        .value_kind:     global_buffer
      - .actual_access:  read_only
        .address_space:  global
        .offset:         80
        .size:           8
        .value_kind:     global_buffer
      - .actual_access:  read_only
        .address_space:  global
        .offset:         88
        .size:           8
        .value_kind:     global_buffer
      - .actual_access:  read_only
        .address_space:  global
        .offset:         96
        .size:           8
        .value_kind:     global_buffer
      - .actual_access:  write_only
        .address_space:  global
        .offset:         104
        .size:           8
        .value_kind:     global_buffer
      - .actual_access:  write_only
        .address_space:  global
        .offset:         112
        .size:           8
        .value_kind:     global_buffer
      - .offset:         120
        .size:           4
        .value_kind:     by_value
      - .offset:         124
        .size:           4
        .value_kind:     by_value
      - .offset:         128
        .size:           4
        .value_kind:     by_value
      - .offset:         132
        .size:           1
        .value_kind:     by_value
    .group_segment_fixed_size: 20488
    .kernarg_segment_align: 8
    .kernarg_segment_size: 136
    .language:       OpenCL C
    .language_version:
      - 2
      - 0
    .max_flat_workgroup_size: 256
    .name:           _ZN9rocsparseL39bsrgeam_block_per_row_multipass_kernel2ILj256ELj32E21rocsparse_complex_numIdEEEv20rocsparse_direction_iiiNS_24const_host_device_scalarIT1_EEPKiS8_PKS5_S6_S8_S8_SA_S8_PiPS5_21rocsparse_index_base_SD_SD_b
    .private_segment_fixed_size: 0
    .sgpr_count:     51
    .sgpr_spill_count: 0
    .symbol:         _ZN9rocsparseL39bsrgeam_block_per_row_multipass_kernel2ILj256ELj32E21rocsparse_complex_numIdEEEv20rocsparse_direction_iiiNS_24const_host_device_scalarIT1_EEPKiS8_PKS5_S6_S8_S8_SA_S8_PiPS5_21rocsparse_index_base_SD_SD_b.kd
    .uniform_work_group_size: 1
    .uses_dynamic_stack: false
    .vgpr_count:     44
    .vgpr_spill_count: 0
    .wavefront_size: 64
amdhsa.target:   amdgcn-amd-amdhsa--gfx90a
amdhsa.version:
  - 1
  - 2
...

	.end_amdgpu_metadata
